;; amdgpu-corpus repo=ROCm/aiter kind=harvested arch=n/a opt=n/a

/root/src/amdgpu-assembly/repos/ROCm__aiter/hsa/gfx950/fmoe/gelu/fmoe_fp16_pertokenFp8_g1u1_vs_gelu_1tg_32x256.co:	file format elf64-amdgpu

Disassembly of section .text:

0000000000002e00 <_ZN5aiter45fmoe_fp16_pertokenFp8_g1u1_vs_gelu_1tg_32x256E>:
	s_and_b32 s1, s1, 0xffff                                   // 000000002E00: 8601FF01 0000FFFF
	s_load_dwordx2 s[8:9], s[0:1], 0x0                         // 000000002E08: C0060200 00000000
	s_load_dwordx2 s[20:21], s[0:1], 0x10                      // 000000002E10: C0060500 00000010
	s_load_dwordx2 s[24:25], s[0:1], 0x20                      // 000000002E18: C0060600 00000020
	s_load_dwordx2 s[50:51], s[0:1], 0x30                      // 000000002E20: C0060C80 00000030
	s_load_dwordx2 s[12:13], s[0:1], 0x40                      // 000000002E28: C0060300 00000040
	s_load_dwordx2 s[28:29], s[0:1], 0x50                      // 000000002E30: C0060700 00000050
	s_load_dwordx2 s[32:33], s[0:1], 0x60                      // 000000002E38: C0060800 00000060
	s_load_dwordx2 s[16:17], s[0:1], 0x70                      // 000000002E40: C0060400 00000070
	s_load_dwordx2 s[36:37], s[0:1], 0x80                      // 000000002E48: C0060900 00000080
	s_load_dwordx2 s[44:45], s[0:1], 0x90                      // 000000002E50: C0060B00 00000090
	s_load_dwordx2 s[40:41], s[0:1], 0xa0                      // 000000002E58: C0060A00 000000A0
	s_load_dwordx2 s[46:47], s[0:1], 0xb0                      // 000000002E60: C0060B80 000000B0
	s_load_dword s64, s[0:1], 0xc0                             // 000000002E68: C0021000 000000C0
	s_load_dword s65, s[0:1], 0xd0                             // 000000002E70: C0021040 000000D0
	s_load_dword s66, s[0:1], 0xe0                             // 000000002E78: C0021080 000000E0
	s_load_dword s67, s[0:1], 0xf0                             // 000000002E80: C00210C0 000000F0
	s_load_dword s68, s[0:1], 0x100                            // 000000002E88: C0021100 00000100
	s_load_dword s69, s[0:1], 0x110                            // 000000002E90: C0021140 00000110
	s_load_dword s70, s[0:1], 0x120                            // 000000002E98: C0021180 00000120
	s_load_dword s71, s[0:1], 0x130                            // 000000002EA0: C00211C0 00000130
	s_load_dword s72, s[0:1], 0x140                            // 000000002EA8: C0021200 00000140
	s_load_dword s73, s[0:1], 0x150                            // 000000002EB0: C0021240 00000150
	s_load_dword s74, s[0:1], 0x160                            // 000000002EB8: C0021280 00000160
	s_load_dword s75, s[0:1], 0x170                            // 000000002EC0: C00212C0 00000170
	s_load_dword s76, s[0:1], 0x180                            // 000000002EC8: C0021300 00000180
	v_lshrrev_b32_e32 v1, 10, v0                               // 000000002ED0: 2002008A
	v_lshrrev_b32_e32 v2, 10, v1                               // 000000002ED4: 2004028A
	v_and_b32_e32 v2, 0x3ff, v2                                // 000000002ED8: 260404FF 000003FF
	v_and_b32_e32 v1, 0x3ff, v1                                // 000000002EE0: 260202FF 000003FF
	v_and_b32_e32 v0, 0x3ff, v0                                // 000000002EE8: 260000FF 000003FF
	v_lshrrev_b32_e32 v3, 6, v0                                // 000000002EF0: 20060086
	v_and_b32_e32 v0, 63, v0                                   // 000000002EF4: 260000BF
	s_mov_b32 s2, s2                                           // 000000002EF8: BE820002
	s_mov_b32 s3, s3                                           // 000000002EFC: BE830003
	s_mov_b32 s4, s4                                           // 000000002F00: BE840004
	v_readfirstlane_b32 s7, v3                                 // 000000002F04: 7E0E0503
	s_waitcnt lgkmcnt(0)                                       // 000000002F08: BF8CC07F
	s_and_b32 s51, s51, 0xffff                                 // 000000002F0C: 8633FF33 0000FFFF
	s_load_dword s50, s[50:51], 0x0                            // 000000002F14: C0020C99 00000000
	s_and_b32 s45, s45, 0xffff                                 // 000000002F1C: 862DFF2D 0000FFFF
	s_and_b32 s47, s47, 0xffff                                 // 000000002F24: 862FFF2F 0000FFFF
	s_and_b32 s9, s9, 0xffff                                   // 000000002F2C: 8609FF09 0000FFFF
	s_mul_i32 s60, s66, s68                                    // 000000002F34: 923C4442
	s_mul_i32 s61, s66, 4                                      // 000000002F38: 923D8442
	s_mov_b32 s22, s60                                         // 000000002F3C: BE96003C
	s_mov_b32 s26, -16                                         // 000000002F40: BE9A00D0
	s_mov_b32 s14, -16                                         // 000000002F44: BE8E00D0
	s_mov_b32 s42, -16                                         // 000000002F48: BEAA00D0
	s_mov_b32 s30, s61                                         // 000000002F4C: BE9E003D
	s_mov_b32 s34, 0x400                                       // 000000002F50: BEA200FF 00000400
	s_mov_b32 s38, 0x400                                       // 000000002F58: BEA600FF 00000400
	s_mov_b32 s18, -16                                         // 000000002F60: BE9200D0
	s_mov_b32 s23, 0x20000                                     // 000000002F64: BE9700FF 00020000
	s_mov_b32 s27, 0x20000                                     // 000000002F6C: BE9B00FF 00020000
	s_mov_b32 s15, 0x20000                                     // 000000002F74: BE8F00FF 00020000
	s_mov_b32 s43, 0x20000                                     // 000000002F7C: BEAB00FF 00020000
	s_mov_b32 s31, 0x20000                                     // 000000002F84: BE9F00FF 00020000
	s_mov_b32 s35, 0x20000                                     // 000000002F8C: BEA300FF 00020000
	s_mov_b32 s39, 0x20000                                     // 000000002F94: BEA700FF 00020000
	s_mov_b32 s19, 0x20000                                     // 000000002F9C: BE9300FF 00020000
	s_and_b32 s21, s21, 0xffff                                 // 000000002FA4: 8615FF15 0000FFFF
	s_and_b32 s25, s25, 0xffff                                 // 000000002FAC: 8619FF19 0000FFFF
	s_and_b32 s13, s13, 0xffff                                 // 000000002FB4: 860DFF0D 0000FFFF
	s_and_b32 s41, s41, 0xffff                                 // 000000002FBC: 8629FF29 0000FFFF
	s_and_b32 s29, s29, 0xffff                                 // 000000002FC4: 861DFF1D 0000FFFF
	s_and_b32 s33, s33, 0xffff                                 // 000000002FCC: 8621FF21 0000FFFF
	s_and_b32 s37, s37, 0xffff                                 // 000000002FD4: 8625FF25 0000FFFF
	s_and_b32 s17, s17, 0xffff                                 // 000000002FDC: 8611FF11 0000FFFF
	s_or_b32 s21, s21, 0x40000                                 // 000000002FE4: 8715FF15 00040000
	s_or_b32 s25, s25, 0x40000                                 // 000000002FEC: 8719FF19 00040000
	s_or_b32 s13, s13, 0x40000                                 // 000000002FF4: 870DFF0D 00040000
	s_or_b32 s41, s41, 0x40000                                 // 000000002FFC: 8729FF29 00040000
	s_or_b32 s29, s29, 0x40000                                 // 000000003004: 871DFF1D 00040000
	s_or_b32 s33, s33, 0x40000                                 // 00000000300C: 8721FF21 00040000
	s_or_b32 s37, s37, 0x40000                                 // 000000003014: 8725FF25 00040000
	s_or_b32 s17, s17, 0x40000                                 // 00000000301C: 8711FF11 00040000
	v_accvgpr_write_b32 a127, 0                                // 000000003024: D3D9407F 18000080
	v_mov_b32_e32 v223, 0                                      // 00000000302C: 7FBE0280
	s_waitcnt lgkmcnt(0)                                       // 000000003030: BF8CC07F
	s_mul_i32 s60, s3, 32                                      // 000000003034: 923CA003
	s_cmp_lt_i32 s60, s50                                      // 000000003038: BF04323C
	s_cbranch_scc0 label_18AC                                  // 00000000303C: BF84181C
	s_mov_b32 s80, 0                                           // 000000003040: BED00080
	s_mov_b32 s81, s64                                         // 000000003044: BED10040
	s_mul_i32 s60, s3, 4                                       // 000000003048: 923C8403
	s_add_u32 s46, s60, s46                                    // 00000000304C: 802E2E3C
	s_addc_u32 s47, 0, s47                                     // 000000003050: 822F2F80
	s_load_dword s5, s[46:47], 0x0                             // 000000003054: C0020157 00000000
	s_mul_i32 s60, s3, 32                                      // 00000000305C: 923CA003
	s_mul_i32 s60, 4, s60                                      // 000000003060: 923C3C84
	v_and_b32_e32 v46, 15, v0                                  // 000000003064: 265C008F
	v_lshlrev_b32_e32 v46, 2, v46                              // 000000003068: 245C5C82
	v_add_u32_e32 v46, s60, v46                                // 00000000306C: 685C5C3C
	v_mov_b32_e32 v47, 0                                       // 000000003070: 7E5E0280
	global_load_dword v6, v46, s[44:45]                        // 000000003074: DC508000 062C002E
	v_add_u32_e32 v46, 64, v46                                 // 00000000307C: 685C5CC0
	global_load_dword v7, v46, s[44:45]                        // 000000003080: DC508000 072C002E
	s_mul_i32 s60, s3, 32                                      // 000000003088: 923CA003
	s_add_u32 s60, s7, s60                                     // 00000000308C: 803C3C07
	s_mul_i32 s60, 4, s60                                      // 000000003090: 923C3C84
	s_add_u32 s44, s60, s44                                    // 000000003094: 802C2C3C
	s_addc_u32 s45, 0, s45                                     // 000000003098: 822D2D80
	s_load_dword s82, s[44:45], 0x0                            // 00000000309C: C0021496 00000000
	s_load_dword s83, s[44:45], 0x10                           // 0000000030A4: C00214D6 00000010
	s_load_dword s84, s[44:45], 0x20                           // 0000000030AC: C0021516 00000020
	s_load_dword s85, s[44:45], 0x30                           // 0000000030B4: C0021556 00000030
	s_load_dword s86, s[44:45], 0x40                           // 0000000030BC: C0021596 00000040
	s_load_dword s87, s[44:45], 0x50                           // 0000000030C4: C00215D6 00000050
	s_load_dword s88, s[44:45], 0x60                           // 0000000030CC: C0021616 00000060
	s_load_dword s89, s[44:45], 0x70                           // 0000000030D4: C0021656 00000070
	s_waitcnt lgkmcnt(0)                                       // 0000000030DC: BF8CC07F
	v_lshlrev_b32_e32 v46, 2, v0                               // 0000000030E0: 245C0082
	s_and_b32 s82, s82, 0xffffff                               // 0000000030E4: 8652FF52 00FFFFFF
	s_mul_i32 s60, s82, s68                                    // 0000000030EC: 923C4452
	v_add_u32_e64 v24, v46, s60                                // 0000000030F0: D1340018 0000792E
	s_and_b32 s83, s83, 0xffffff                               // 0000000030F8: 8653FF53 00FFFFFF
	s_mul_i32 s60, s83, s68                                    // 000000003100: 923C4453
	v_add_u32_e64 v25, v46, s60                                // 000000003104: D1340019 0000792E
	s_and_b32 s84, s84, 0xffffff                               // 00000000310C: 8654FF54 00FFFFFF
	s_mul_i32 s60, s84, s68                                    // 000000003114: 923C4454
	v_add_u32_e64 v26, v46, s60                                // 000000003118: D134001A 0000792E
	s_and_b32 s85, s85, 0xffffff                               // 000000003120: 8655FF55 00FFFFFF
	s_mul_i32 s60, s85, s68                                    // 000000003128: 923C4455
	v_add_u32_e64 v27, v46, s60                                // 00000000312C: D134001B 0000792E
	s_and_b32 s86, s86, 0xffffff                               // 000000003134: 8656FF56 00FFFFFF
	s_mul_i32 s60, s86, s68                                    // 00000000313C: 923C4456
	v_add_u32_e64 v28, v46, s60                                // 000000003140: D134001C 0000792E
	s_and_b32 s87, s87, 0xffffff                               // 000000003148: 8657FF57 00FFFFFF
	s_mul_i32 s60, s87, s68                                    // 000000003150: 923C4457
	v_add_u32_e64 v29, v46, s60                                // 000000003154: D134001D 0000792E
	s_and_b32 s88, s88, 0xffffff                               // 00000000315C: 8658FF58 00FFFFFF
	s_mul_i32 s60, s88, s68                                    // 000000003164: 923C4458
	v_add_u32_e64 v30, v46, s60                                // 000000003168: D134001E 0000792E
	s_and_b32 s89, s89, 0xffffff                               // 000000003170: 8659FF59 00FFFFFF
	s_mul_i32 s60, s89, s68                                    // 000000003178: 923C4459
	v_add_u32_e64 v31, v46, s60                                // 00000000317C: D134001F 0000792E
	v_lshlrev_b32_e32 v46, 2, v0                               // 000000003184: 245C0082
	s_mul_i32 s60, s82, s71                                    // 000000003188: 923C4752
	v_add_u32_e64 v80, v46, s60                                // 00000000318C: D1340050 0000792E
	v_mov_b32_e32 v81, 0                                       // 000000003194: 7EA20280
	s_mul_i32 s60, s83, s71                                    // 000000003198: 923C4753
	v_add_u32_e64 v82, v46, s60                                // 00000000319C: D1340052 0000792E
	v_mov_b32_e32 v83, 0                                       // 0000000031A4: 7EA60280
	s_mul_i32 s60, s84, s71                                    // 0000000031A8: 923C4754
	v_add_u32_e64 v84, v46, s60                                // 0000000031AC: D1340054 0000792E
	v_mov_b32_e32 v85, 0                                       // 0000000031B4: 7EAA0280
	s_mul_i32 s60, s85, s71                                    // 0000000031B8: 923C4755
	v_add_u32_e64 v86, v46, s60                                // 0000000031BC: D1340056 0000792E
	v_mov_b32_e32 v87, 0                                       // 0000000031C4: 7EAE0280
	s_mul_i32 s60, s86, s71                                    // 0000000031C8: 923C4756
	v_add_u32_e64 v88, v46, s60                                // 0000000031CC: D1340058 0000792E
	v_mov_b32_e32 v89, 0                                       // 0000000031D4: 7EB20280
	s_mul_i32 s60, s87, s71                                    // 0000000031D8: 923C4757
	v_add_u32_e64 v90, v46, s60                                // 0000000031DC: D134005A 0000792E
	v_mov_b32_e32 v91, 0                                       // 0000000031E4: 7EB60280
	s_mul_i32 s60, s88, s71                                    // 0000000031E8: 923C4758
	v_add_u32_e64 v92, v46, s60                                // 0000000031EC: D134005C 0000792E
	v_mov_b32_e32 v93, 0                                       // 0000000031F4: 7EBA0280
	s_mul_i32 s60, s89, s71                                    // 0000000031F8: 923C4759
	v_add_u32_e64 v94, v46, s60                                // 0000000031FC: D134005E 0000792E
	v_mov_b32_e32 v95, 0                                       // 000000003204: 7EBE0280
	s_mul_i32 s60, s7, 0x820                                   // 000000003208: 923CFF07 00000820
	s_add_u32 s50, 0, s60                                      // 000000003210: 80323C80
	s_add_u32 s51, 0x2080, s50                                 // 000000003214: 803332FF 00002080
	v_lshrrev_b32_e32 v46, 4, v0                               // 00000000321C: 205C0084
	v_lshlrev_b32_e32 v47, 2, v46                              // 000000003220: 245E5C82
	v_and_b32_e32 v46, 15, v0                                  // 000000003224: 265C008F
	v_lshrrev_b32_e32 v48, 2, v46                              // 000000003228: 20605C82
	v_lshlrev_b32_e32 v48, 6, v48                              // 00000000322C: 24606086
	v_add_u32_e32 v47, v48, v47                                // 000000003230: 685E5F30
	v_and_b32_e32 v46, 3, v0                                   // 000000003234: 265C0083
	v_mul_i32_i24_e32 v48, 0x208, v46                          // 000000003238: 0C605CFF 00000208
	v_add_u32_e32 v47, v48, v47                                // 000000003240: 685E5F30
	v_lshlrev_b32_e32 v2, 2, v47                               // 000000003244: 24045E82
	s_mul_i32 s60, s2, 0x100                                   // 000000003248: 923CFF02 00000100
	s_mul_i32 s60, s60, s69                                    // 000000003250: 923C453C
	s_mul_i32 s61, s5, s72                                     // 000000003254: 923D4805
	s_add_u32 s60, s61, s60                                    // 000000003258: 803C3C3D
	s_add_u32 s24, s60, s24                                    // 00000000325C: 8018183C
	s_addc_u32 s25, 0, s25                                     // 000000003260: 82191980
	s_mul_i32 s60, s7, 16                                      // 000000003264: 923C9007
	s_mul_i32 s60, s60, s69                                    // 000000003268: 923C453C
	v_lshlrev_b32_e32 v32, 4, v0                               // 00000000326C: 24400084
	v_add_u32_e32 v32, s60, v32                                // 000000003270: 6840403C
	s_mul_i32 s60, 64, s69                                     // 000000003274: 923C45C0
	v_add_u32_e32 v33, s60, v32                                // 000000003278: 6842403C
	v_add_u32_e32 v34, s60, v33                                // 00000000327C: 6844423C
	v_add_u32_e32 v35, s60, v34                                // 000000003280: 6846443C
	s_mov_b32 s92, s24                                         // 000000003284: BEDC0018
	s_mov_b32 s93, s25                                         // 000000003288: BEDD0019
	s_mov_b32 s94, s26                                         // 00000000328C: BEDE001A
	s_mov_b32 s95, s27                                         // 000000003290: BEDF001B
	s_mul_i32 s60, s69, s65                                    // 000000003294: 923C4145
	s_add_u32 s92, s60, s92                                    // 000000003298: 805C5C3C
	s_addc_u32 s93, 0, s93                                     // 00000000329C: 825D5D80
	s_mul_i32 s60, s2, 0x1000                                  // 0000000032A0: 923CFF02 00001000
	s_mul_i32 s61, s5, s73                                     // 0000000032A8: 923D4905
	s_add_u32 s60, s61, s60                                    // 0000000032AC: 803C3C3D
	s_add_u32 s12, s60, s12                                    // 0000000032B0: 800C0C3C
	s_addc_u32 s13, 0, s13                                     // 0000000032B4: 820D0D80
	s_mul_i32 s60, s7, 16                                      // 0000000032B8: 923C9007
	s_mul_i32 s60, s60, s70                                    // 0000000032BC: 923C463C
	v_lshlrev_b32_e32 v36, 4, v0                               // 0000000032C0: 24480084
	v_add_u32_e32 v36, s60, v36                                // 0000000032C4: 6848483C
	s_mul_i32 s60, 64, s70                                     // 0000000032C8: 923C46C0
	v_add_u32_e32 v37, s60, v36                                // 0000000032CC: 684A483C
	v_add_u32_e32 v38, s60, v37                                // 0000000032D0: 684C4A3C
	v_add_u32_e32 v39, s60, v38                                // 0000000032D4: 684E4C3C
	s_mul_i32 s60, s70, 0x100                                  // 0000000032D8: 923CFF46 00000100
	s_mov_b32 s78, 0x400                                       // 0000000032E0: BECE00FF 00000400
	s_mul_i32 s61, s78, 3                                      // 0000000032E8: 923D834E
	s_sub_u32 s56, s60, s61                                    // 0000000032EC: 80B83D3C
	s_mul_i32 s60, s3, 32                                      // 0000000032F0: 923CA003
	s_mul_i32 s60, 4, s60                                      // 0000000032F4: 923C3C84
	s_add_u32 s40, s60, s40                                    // 0000000032F8: 8028283C
	s_addc_u32 s41, 0, s41                                     // 0000000032FC: 82292980
	v_and_b32_e32 v46, 15, v0                                  // 000000003300: 265C008F
	v_lshlrev_b32_e32 v8, 2, v46                               // 000000003304: 24105C82
	v_add_u32_e32 v9, 64, v8                                   // 000000003308: 681210C0
	v_lshrrev_b32_e32 v46, 4, v0                               // 00000000330C: 205C0084
	v_lshlrev_b32_e32 v47, 2, v46                              // 000000003310: 245E5C82
	v_and_b32_e32 v46, 15, v0                                  // 000000003314: 265C008F
	v_lshrrev_b32_e32 v48, 2, v46                              // 000000003318: 20605C82
	v_lshlrev_b32_e32 v48, 6, v48                              // 00000000331C: 24606086
	v_add_u32_e32 v47, v48, v47                                // 000000003320: 685E5F30
	v_and_b32_e32 v46, 3, v0                                   // 000000003324: 265C0083
	v_add_u32_e32 v47, v46, v47                                // 000000003328: 685E5F2E
	v_lshlrev_b32_e32 v10, 2, v47                              // 00000000332C: 24145E82
	v_add_u32_e32 v11, 0x400, v10                              // 000000003330: 681614FF 00000400
	s_mul_i32 s60, s7, 16                                      // 000000003338: 923C9007
	s_mul_i32 s60, s60, 4                                      // 00000000333C: 923C843C
	v_add_u32_e32 v10, s60, v10                                // 000000003340: 6814143C
	v_add_u32_e32 v11, s60, v11                                // 000000003344: 6816163C
	v_mov_b32_e32 v5, v10                                      // 000000003348: 7E0A030A
	s_mul_i32 s60, s2, 0x100                                   // 00000000334C: 923CFF02 00000100
	s_mul_i32 s60, s60, 4                                      // 000000003354: 923C843C
	s_mul_i32 s61, s5, s74                                     // 000000003358: 923D4A05
	s_add_u32 s61, s61, s60                                    // 00000000335C: 803D3C3D
	s_mul_i32 s62, s5, s76                                     // 000000003360: 923E4C05
	s_add_u32 s62, s62, s60                                    // 000000003364: 803E3C3E
	s_add_u32 s32, s61, s32                                    // 000000003368: 8020203D
	s_addc_u32 s33, 0, s33                                     // 00000000336C: 82212180
	s_add_u32 s36, s62, s36                                    // 000000003370: 8024243E
	s_addc_u32 s37, 0, s37                                     // 000000003374: 82252580
	s_mul_i32 s60, s5, s75                                     // 000000003378: 923C4B05
	s_add_u32 s16, s60, s16                                    // 00000000337C: 8010103C
	s_addc_u32 s17, 0, s17                                     // 000000003380: 82111180
	s_mov_b32 s57, 0x100                                       // 000000003384: BEB900FF 00000100
	s_mov_b32 s58, 0x1000                                      // 00000000338C: BEBA00FF 00001000
	s_mov_b32 s79, 0x400                                       // 000000003394: BECF00FF 00000400
	s_mov_b32 s59, 0                                           // 00000000339C: BEBB0080
	s_mov_b32 s90, s58                                         // 0000000033A0: BEDA003A
	s_mov_b32 s52, 0x7060302                                   // 0000000033A4: BEB400FF 07060302
	s_mov_b32 s53, 0x400                                       // 0000000033AC: BEB500FF 00000400
	s_mov_b32 s54, 0x40100                                     // 0000000033B4: BEB600FF 00040100
	s_mov_b32 s55, 0x4020100                                   // 0000000033BC: BEB700FF 04020100
	s_mov_b32 s6, 0x3fb8aa3b                                   // 0000000033C4: BE8600FF 3FB8AA3B
	s_mov_b32 s77, 0xbd92220c                                  // 0000000033CC: BECD00FF BD92220C
	s_mov_b32 m0, s50                                          // 0000000033D4: BEFC0032
	v_mov_b32_e32 v1, 0xbfcc4231                               // 0000000033D8: 7E0202FF BFCC4231
	v_mov_b32_e32 v41, 0xffff0000                              // 0000000033E0: 7E5202FF FFFF0000
	v_mov_b32_e32 v42, 0x7fff0000                              // 0000000033E8: 7E5402FF 7FFF0000
	v_mov_b32_e32 v43, 0x7fff                                  // 0000000033F0: 7E5602FF 00007FFF
	s_waitcnt vmcnt(0) expcnt(0) lgkmcnt(0)                    // 0000000033F8: BF8C0000
	v_and_b32_e32 v6, 0xffffff, v6                             // 0000000033FC: 260C0CFF 00FFFFFF
	v_and_b32_e32 v7, 0xffffff, v7                             // 000000003404: 260E0EFF 00FFFFFF
	v_lshlrev_b32_e32 v6, 2, v6                                // 00000000340C: 240C0C82
	v_lshlrev_b32_e32 v7, 2, v7                                // 000000003410: 240E0E82
	buffer_load_dword v13, v6, s[28:31], 0 offen               // 000000003414: E0501000 80070D06
	buffer_load_dword v14, v7, s[28:31], 0 offen               // 00000000341C: E0501000 80070E07
	buffer_load_dword v15, v10, s[32:35], 0 offen              // 000000003424: E0501000 80080F0A
	buffer_load_dword v16, v11, s[32:35], 0 offen              // 00000000342C: E0501000 8008100B
	s_mul_i32 s60, 4, s65                                      // 000000003434: 923C4184
	s_add_u32 s32, s60, s32                                    // 000000003438: 8020203C
	s_addc_u32 s33, 0, s33                                     // 00000000343C: 82212180
	buffer_load_dword v44, v10, s[32:35], 0 offen              // 000000003440: E0501000 80082C0A
	buffer_load_dword v45, v11, s[32:35], 0 offen              // 000000003448: E0501000 80082D0B
	buffer_load_dword v17, v8, s[40:43], 0 offen               // 000000003450: E0501000 800A1108
	buffer_load_dword v18, v9, s[40:43], 0 offen               // 000000003458: E0501000 800A1209
	buffer_load_dword v24, s[20:23], 0 offen lds               // 000000003460: E0511000 80050018
	s_add_u32 m0, 0x100, s50                                   // 000000003468: 807C32FF 00000100
	buffer_load_dword v25, s[20:23], 0 offen lds               // 000000003470: E0511000 80050019
	s_add_u32 m0, 0x200, s50                                   // 000000003478: 807C32FF 00000200
	buffer_load_dword v26, s[20:23], 0 offen lds               // 000000003480: E0511000 8005001A
	s_add_u32 m0, 0x300, s50                                   // 000000003488: 807C32FF 00000300
	buffer_load_dword v27, s[20:23], 0 offen lds               // 000000003490: E0511000 8005001B
	s_add_u32 m0, 0x400, s50                                   // 000000003498: 807C32FF 00000400
	buffer_load_dword v28, s[20:23], 0 offen lds               // 0000000034A0: E0511000 8005001C
	s_add_u32 m0, 0x500, s50                                   // 0000000034A8: 807C32FF 00000500
	buffer_load_dword v29, s[20:23], 0 offen lds               // 0000000034B0: E0511000 8005001D
	s_add_u32 m0, 0x600, s50                                   // 0000000034B8: 807C32FF 00000600
	buffer_load_dword v30, s[20:23], 0 offen lds               // 0000000034C0: E0511000 8005001E
	s_add_u32 m0, 0x700, s50                                   // 0000000034C8: 807C32FF 00000700
	buffer_load_dword v31, s[20:23], 0 offen lds               // 0000000034D0: E0511000 8005001F
	s_add_u32 m0, 0, s51                                       // 0000000034D8: 807C3380
	s_add_u32 s20, s57, s20                                    // 0000000034DC: 80141439
	s_addc_u32 s21, 0, s21                                     // 0000000034E0: 82151580
	buffer_load_dwordx4 a[0:3], v32, s[24:27], 0 offen         // 0000000034E4: E05C1000 80860020
	buffer_load_dwordx4 a[4:7], v32, s[24:27], 0 offen offset:1024// 0000000034EC: E05C1400 80860420
	buffer_load_dwordx4 a[8:11], v32, s[24:27], 0 offen offset:2048// 0000000034F4: E05C1800 80860820
	buffer_load_dwordx4 a[12:15], v32, s[24:27], 0 offen offset:3072// 0000000034FC: E05C1C00 80860C20
	buffer_load_dwordx4 a[16:19], v33, s[24:27], 0 offen       // 000000003504: E05C1000 80861021
	buffer_load_dwordx4 a[20:23], v33, s[24:27], 0 offen offset:1024// 00000000350C: E05C1400 80861421
	buffer_load_dwordx4 a[24:27], v33, s[24:27], 0 offen offset:2048// 000000003514: E05C1800 80861821
	buffer_load_dwordx4 a[28:31], v33, s[24:27], 0 offen offset:3072// 00000000351C: E05C1C00 80861C21
	buffer_load_dwordx4 a[32:35], v34, s[24:27], 0 offen       // 000000003524: E05C1000 80862022
	buffer_load_dwordx4 a[36:39], v34, s[24:27], 0 offen offset:1024// 00000000352C: E05C1400 80862422
	buffer_load_dwordx4 a[40:43], v34, s[24:27], 0 offen offset:2048// 000000003534: E05C1800 80862822
	buffer_load_dwordx4 a[44:47], v34, s[24:27], 0 offen offset:3072// 00000000353C: E05C1C00 80862C22
	buffer_load_dwordx4 a[48:51], v35, s[24:27], 0 offen       // 000000003544: E05C1000 80863023
	buffer_load_dwordx4 a[52:55], v35, s[24:27], 0 offen offset:1024// 00000000354C: E05C1400 80863423
	buffer_load_dwordx4 a[56:59], v35, s[24:27], 0 offen offset:2048// 000000003554: E05C1800 80863823
	buffer_load_dwordx4 a[60:63], v35, s[24:27], 0 offen offset:3072// 00000000355C: E05C1C00 80863C23
	s_add_u32 s24, s58, s24                                    // 000000003564: 8018183A
	s_addc_u32 s25, 0, s25                                     // 000000003568: 82191980
	v_mov_b32_e32 v128, 0                                      // 00000000356C: 7F000280
	v_mov_b32_e32 v64, 0                                       // 000000003570: 7E800280
	v_mov_b32_e32 v129, 0                                      // 000000003574: 7F020280
	v_mov_b32_e32 v65, 0                                       // 000000003578: 7E820280
	v_mov_b32_e32 v130, 0                                      // 00000000357C: 7F040280
	v_mov_b32_e32 v66, 0                                       // 000000003580: 7E840280
	v_mov_b32_e32 v131, 0                                      // 000000003584: 7F060280
	v_mov_b32_e32 v67, 0                                       // 000000003588: 7E860280
	v_mov_b32_e32 v132, 0                                      // 00000000358C: 7F080280
	v_mov_b32_e32 v68, 0                                       // 000000003590: 7E880280
	v_mov_b32_e32 v133, 0                                      // 000000003594: 7F0A0280
	v_mov_b32_e32 v69, 0                                       // 000000003598: 7E8A0280
	v_mov_b32_e32 v134, 0                                      // 00000000359C: 7F0C0280
	v_mov_b32_e32 v70, 0                                       // 0000000035A0: 7E8C0280
	v_mov_b32_e32 v135, 0                                      // 0000000035A4: 7F0E0280
	v_mov_b32_e32 v71, 0                                       // 0000000035A8: 7E8E0280
	v_mov_b32_e32 v136, 0                                      // 0000000035AC: 7F100280
	v_mov_b32_e32 v72, 0                                       // 0000000035B0: 7E900280
	v_mov_b32_e32 v137, 0                                      // 0000000035B4: 7F120280
	v_mov_b32_e32 v73, 0                                       // 0000000035B8: 7E920280
	v_mov_b32_e32 v138, 0                                      // 0000000035BC: 7F140280
	v_mov_b32_e32 v74, 0                                       // 0000000035C0: 7E940280
	v_mov_b32_e32 v139, 0                                      // 0000000035C4: 7F160280
	v_mov_b32_e32 v75, 0                                       // 0000000035C8: 7E960280
	v_mov_b32_e32 v140, 0                                      // 0000000035CC: 7F180280
	v_mov_b32_e32 v76, 0                                       // 0000000035D0: 7E980280
	v_mov_b32_e32 v141, 0                                      // 0000000035D4: 7F1A0280
	v_mov_b32_e32 v77, 0                                       // 0000000035D8: 7E9A0280
	v_mov_b32_e32 v142, 0                                      // 0000000035DC: 7F1C0280
	v_mov_b32_e32 v78, 0                                       // 0000000035E0: 7E9C0280
	v_mov_b32_e32 v143, 0                                      // 0000000035E4: 7F1E0280
	v_mov_b32_e32 v79, 0                                       // 0000000035E8: 7E9E0280
	v_mov_b32_e32 v144, 0                                      // 0000000035EC: 7F200280
	v_mov_b32_e32 v80, 0                                       // 0000000035F0: 7EA00280
	v_mov_b32_e32 v145, 0                                      // 0000000035F4: 7F220280
	v_mov_b32_e32 v81, 0                                       // 0000000035F8: 7EA20280
	v_mov_b32_e32 v146, 0                                      // 0000000035FC: 7F240280
	v_mov_b32_e32 v82, 0                                       // 000000003600: 7EA40280
	v_mov_b32_e32 v147, 0                                      // 000000003604: 7F260280
	v_mov_b32_e32 v83, 0                                       // 000000003608: 7EA60280
	v_mov_b32_e32 v148, 0                                      // 00000000360C: 7F280280
	v_mov_b32_e32 v84, 0                                       // 000000003610: 7EA80280
	v_mov_b32_e32 v149, 0                                      // 000000003614: 7F2A0280
	v_mov_b32_e32 v85, 0                                       // 000000003618: 7EAA0280
	v_mov_b32_e32 v150, 0                                      // 00000000361C: 7F2C0280
	v_mov_b32_e32 v86, 0                                       // 000000003620: 7EAC0280
	v_mov_b32_e32 v151, 0                                      // 000000003624: 7F2E0280
	v_mov_b32_e32 v87, 0                                       // 000000003628: 7EAE0280
	v_mov_b32_e32 v152, 0                                      // 00000000362C: 7F300280
	v_mov_b32_e32 v88, 0                                       // 000000003630: 7EB00280
	v_mov_b32_e32 v153, 0                                      // 000000003634: 7F320280
	v_mov_b32_e32 v89, 0                                       // 000000003638: 7EB20280
	v_mov_b32_e32 v154, 0                                      // 00000000363C: 7F340280
	v_mov_b32_e32 v90, 0                                       // 000000003640: 7EB40280
	v_mov_b32_e32 v155, 0                                      // 000000003644: 7F360280
	v_mov_b32_e32 v91, 0                                       // 000000003648: 7EB60280
	v_mov_b32_e32 v156, 0                                      // 00000000364C: 7F380280
	v_mov_b32_e32 v92, 0                                       // 000000003650: 7EB80280
	v_mov_b32_e32 v157, 0                                      // 000000003654: 7F3A0280
	v_mov_b32_e32 v93, 0                                       // 000000003658: 7EBA0280
	v_mov_b32_e32 v158, 0                                      // 00000000365C: 7F3C0280
	v_mov_b32_e32 v94, 0                                       // 000000003660: 7EBC0280
	v_mov_b32_e32 v159, 0                                      // 000000003664: 7F3E0280
	v_mov_b32_e32 v95, 0                                       // 000000003668: 7EBE0280
	v_lshrrev_b32_e32 v46, 4, v0                               // 00000000366C: 205C0084
	v_mul_i32_i24_e32 v3, 34, v46                              // 000000003670: 0C065CA2
	v_and_b32_e32 v46, 15, v0                                  // 000000003674: 265C008F
	v_mul_i32_i24_e32 v47, 2, v46                              // 000000003678: 0C5E5C82
	v_add_u32_e32 v3, v47, v3                                  // 00000000367C: 6806072F
	s_mul_i32 s60, s7, 0x88                                    // 000000003680: 923CFF07 00000088
	v_add_u32_e32 v3, s60, v3                                  // 000000003688: 6806063C
	v_lshlrev_b32_e32 v3, 2, v3                                // 00000000368C: 24060682
	v_lshrrev_b32_e32 v46, 1, v0                               // 000000003690: 205C0081
	v_mul_i32_i24_e32 v4, 34, v46                              // 000000003694: 0C085CA2
	v_and_b32_e32 v47, 1, v0                                   // 000000003698: 265E0081
	v_add_u32_e32 v4, v47, v4                                  // 00000000369C: 6808092F
	s_mul_i32 s60, s7, 2                                       // 0000000036A0: 923C8207
	v_add_u32_e32 v4, s60, v4                                  // 0000000036A4: 6808083C
	v_lshlrev_b32_e32 v4, 2, v4                                // 0000000036A8: 24080882
	s_waitcnt vmcnt(16)                                        // 0000000036AC: BF8C4F70
	s_barrier                                                  // 0000000036B0: BF8A0000
	ds_read_b128 v[160:163], v2                                // 0000000036B4: D9FE0000 A0000002
	ds_read_b128 v[164:167], v2 offset:64                      // 0000000036BC: D9FE0040 A4000002
	ds_read_b128 v[168:171], v2 offset:128                     // 0000000036C4: D9FE0080 A8000002
	ds_read_b128 v[172:175], v2 offset:192                     // 0000000036CC: D9FE00C0 AC000002
	ds_read_b128 v[176:179], v2 offset:1024                    // 0000000036D4: D9FE0400 B0000002
	ds_read_b128 v[180:183], v2 offset:1088                    // 0000000036DC: D9FE0440 B4000002
	ds_read_b128 v[184:187], v2 offset:1152                    // 0000000036E4: D9FE0480 B8000002
	ds_read_b128 v[188:191], v2 offset:1216                    // 0000000036EC: D9FE04C0 BC000002
	s_cmp_lt_i32 s7, 2                                         // 0000000036F4: BF048207
	s_cbranch_scc0 label_0CCE                                  // 0000000036F8: BF840A8F

00000000000036fc <label_023F>:
	s_waitcnt vmcnt(8) lgkmcnt(0)                              // 0000000036FC: BF8C0078
	s_barrier                                                  // 000000003700: BF8A0000
	v_mfma_f32_16x16x32_fp8_fp8 v[128:131], a[0:1], v[160:161], v[128:131]// 000000003704: D3F30080 0E034100
	v_mfma_f32_16x16x32_fp8_fp8 v[128:131], a[2:3], v[162:163], v[128:131]// 00000000370C: D3F30080 0E034502
	buffer_load_dwordx4 a[64:67], v32, s[92:95], 0 offen       // 000000003714: E05C1000 80974020
	v_mfma_f32_16x16x32_fp8_fp8 v[128:131], a[4:5], v[164:165], v[128:131]// 00000000371C: D3F30080 0E034904
	v_mfma_f32_16x16x32_fp8_fp8 v[128:131], a[6:7], v[166:167], v[128:131]// 000000003724: D3F30080 0E034D06
	buffer_load_dword v24, s[20:23], 0 offen lds               // 00000000372C: E0511000 80050018
	s_add_u32 m0, 0x100, s51                                   // 000000003734: 807C33FF 00000100
	v_mfma_f32_16x16x32_fp8_fp8 v[128:131], a[8:9], v[168:169], v[128:131]// 00000000373C: D3F30080 0E035108
	v_mfma_f32_16x16x32_fp8_fp8 v[128:131], a[10:11], v[170:171], v[128:131]// 000000003744: D3F30080 0E03550A
	buffer_load_dwordx4 a[68:71], v32, s[92:95], 0 offen offset:1024// 00000000374C: E05C1400 80974420
	v_mfma_f32_16x16x32_fp8_fp8 v[128:131], a[12:13], v[172:173], v[128:131]// 000000003754: D3F30080 0E03590C
	v_mfma_f32_16x16x32_fp8_fp8 v[128:131], a[14:15], v[174:175], v[128:131]// 00000000375C: D3F30080 0E035D0E
	buffer_load_dword v25, s[20:23], 0 offen lds               // 000000003764: E0511000 80050019
	s_add_u32 m0, 0x200, s51                                   // 00000000376C: 807C33FF 00000200
	v_mfma_f32_16x16x32_fp8_fp8 v[132:135], a[0:1], v[176:177], v[132:135]// 000000003774: D3F30084 0E136100
	v_mfma_f32_16x16x32_fp8_fp8 v[132:135], a[2:3], v[178:179], v[132:135]// 00000000377C: D3F30084 0E136502
	buffer_load_dwordx4 a[72:75], v32, s[92:95], 0 offen offset:2048// 000000003784: E05C1800 80974820
	v_mfma_f32_16x16x32_fp8_fp8 v[132:135], a[4:5], v[180:181], v[132:135]// 00000000378C: D3F30084 0E136904
	v_mfma_f32_16x16x32_fp8_fp8 v[132:135], a[6:7], v[182:183], v[132:135]// 000000003794: D3F30084 0E136D06
	buffer_load_dword v26, s[20:23], 0 offen lds               // 00000000379C: E0511000 8005001A
	s_add_u32 m0, 0x300, s51                                   // 0000000037A4: 807C33FF 00000300
	v_mfma_f32_16x16x32_fp8_fp8 v[132:135], a[8:9], v[184:185], v[132:135]// 0000000037AC: D3F30084 0E137108
	v_mfma_f32_16x16x32_fp8_fp8 v[132:135], a[10:11], v[186:187], v[132:135]// 0000000037B4: D3F30084 0E13750A
	buffer_load_dwordx4 a[76:79], v32, s[92:95], 0 offen offset:3072// 0000000037BC: E05C1C00 80974C20
	v_mfma_f32_16x16x32_fp8_fp8 v[132:135], a[12:13], v[188:189], v[132:135]// 0000000037C4: D3F30084 0E13790C
	v_mfma_f32_16x16x32_fp8_fp8 v[132:135], a[14:15], v[190:191], v[132:135]// 0000000037CC: D3F30084 0E137D0E
	buffer_load_dword v27, s[20:23], 0 offen lds               // 0000000037D4: E0511000 8005001B
	s_add_u32 m0, 0x400, s51                                   // 0000000037DC: 807C33FF 00000400
	v_mfma_f32_16x16x32_fp8_fp8 v[136:139], a[16:17], v[160:161], v[136:139]// 0000000037E4: D3F30088 0E234110
	v_mfma_f32_16x16x32_fp8_fp8 v[136:139], a[18:19], v[162:163], v[136:139]// 0000000037EC: D3F30088 0E234512
	buffer_load_dwordx4 a[80:83], v33, s[92:95], 0 offen       // 0000000037F4: E05C1000 80975021
	v_mfma_f32_16x16x32_fp8_fp8 v[136:139], a[20:21], v[164:165], v[136:139]// 0000000037FC: D3F30088 0E234914
	v_mfma_f32_16x16x32_fp8_fp8 v[136:139], a[22:23], v[166:167], v[136:139]// 000000003804: D3F30088 0E234D16
	buffer_load_dword v28, s[20:23], 0 offen lds               // 00000000380C: E0511000 8005001C
	s_add_u32 m0, 0x500, s51                                   // 000000003814: 807C33FF 00000500
	v_mfma_f32_16x16x32_fp8_fp8 v[136:139], a[24:25], v[168:169], v[136:139]// 00000000381C: D3F30088 0E235118
	v_mfma_f32_16x16x32_fp8_fp8 v[136:139], a[26:27], v[170:171], v[136:139]// 000000003824: D3F30088 0E23551A
	buffer_load_dwordx4 a[84:87], v33, s[92:95], 0 offen offset:1024// 00000000382C: E05C1400 80975421
	v_mfma_f32_16x16x32_fp8_fp8 v[136:139], a[28:29], v[172:173], v[136:139]// 000000003834: D3F30088 0E23591C
	v_mfma_f32_16x16x32_fp8_fp8 v[136:139], a[30:31], v[174:175], v[136:139]// 00000000383C: D3F30088 0E235D1E
	buffer_load_dword v29, s[20:23], 0 offen lds               // 000000003844: E0511000 8005001D
	s_add_u32 m0, 0x600, s51                                   // 00000000384C: 807C33FF 00000600
	v_mfma_f32_16x16x32_fp8_fp8 v[140:143], a[16:17], v[176:177], v[140:143]// 000000003854: D3F3008C 0E336110
	v_mfma_f32_16x16x32_fp8_fp8 v[140:143], a[18:19], v[178:179], v[140:143]// 00000000385C: D3F3008C 0E336512
	buffer_load_dwordx4 a[88:91], v33, s[92:95], 0 offen offset:2048// 000000003864: E05C1800 80975821
	v_mfma_f32_16x16x32_fp8_fp8 v[140:143], a[20:21], v[180:181], v[140:143]// 00000000386C: D3F3008C 0E336914
	v_mfma_f32_16x16x32_fp8_fp8 v[140:143], a[22:23], v[182:183], v[140:143]// 000000003874: D3F3008C 0E336D16
	buffer_load_dword v30, s[20:23], 0 offen lds               // 00000000387C: E0511000 8005001E
	s_add_u32 m0, 0x700, s51                                   // 000000003884: 807C33FF 00000700
	v_mfma_f32_16x16x32_fp8_fp8 v[140:143], a[24:25], v[184:185], v[140:143]// 00000000388C: D3F3008C 0E337118
	v_mfma_f32_16x16x32_fp8_fp8 v[140:143], a[26:27], v[186:187], v[140:143]// 000000003894: D3F3008C 0E33751A
	buffer_load_dwordx4 a[92:95], v33, s[92:95], 0 offen offset:3072// 00000000389C: E05C1C00 80975C21
	v_mfma_f32_16x16x32_fp8_fp8 v[140:143], a[28:29], v[188:189], v[140:143]// 0000000038A4: D3F3008C 0E33791C
	v_mfma_f32_16x16x32_fp8_fp8 v[140:143], a[30:31], v[190:191], v[140:143]// 0000000038AC: D3F3008C 0E337D1E
	buffer_load_dword v31, s[20:23], 0 offen lds               // 0000000038B4: E0511000 8005001F
	s_add_u32 m0, 0, s50                                       // 0000000038BC: 807C3280
	s_waitcnt vmcnt(20)                                        // 0000000038C0: BF8C4F74
	v_mfma_f32_16x16x32_fp8_fp8 v[144:147], a[32:33], v[160:161], v[144:147]// 0000000038C4: D3F30090 0E434120
	v_mfma_f32_16x16x32_fp8_fp8 v[144:147], a[34:35], v[162:163], v[144:147]// 0000000038CC: D3F30090 0E434522
	buffer_load_dwordx4 a[96:99], v34, s[92:95], 0 offen       // 0000000038D4: E05C1000 80976022
	v_mfma_f32_16x16x32_fp8_fp8 v[144:147], a[36:37], v[164:165], v[144:147]// 0000000038DC: D3F30090 0E434924
	v_mfma_f32_16x16x32_fp8_fp8 v[144:147], a[38:39], v[166:167], v[144:147]// 0000000038E4: D3F30090 0E434D26
	v_mfma_f32_16x16x32_fp8_fp8 v[144:147], a[40:41], v[168:169], v[144:147]// 0000000038EC: D3F30090 0E435128
	v_mfma_f32_16x16x32_fp8_fp8 v[144:147], a[42:43], v[170:171], v[144:147]// 0000000038F4: D3F30090 0E43552A
	buffer_load_dwordx4 a[100:103], v34, s[92:95], 0 offen offset:1024// 0000000038FC: E05C1400 80976422
	v_mfma_f32_16x16x32_fp8_fp8 v[144:147], a[44:45], v[172:173], v[144:147]// 000000003904: D3F30090 0E43592C
	v_mfma_f32_16x16x32_fp8_fp8 v[144:147], a[46:47], v[174:175], v[144:147]// 00000000390C: D3F30090 0E435D2E
	v_mfma_f32_16x16x32_fp8_fp8 v[148:151], a[32:33], v[176:177], v[148:151]// 000000003914: D3F30094 0E536120
	v_mfma_f32_16x16x32_fp8_fp8 v[148:151], a[34:35], v[178:179], v[148:151]// 00000000391C: D3F30094 0E536522
	buffer_load_dwordx4 a[104:107], v34, s[92:95], 0 offen offset:2048// 000000003924: E05C1800 80976822
	v_mfma_f32_16x16x32_fp8_fp8 v[148:151], a[36:37], v[180:181], v[148:151]// 00000000392C: D3F30094 0E536924
	v_mfma_f32_16x16x32_fp8_fp8 v[148:151], a[38:39], v[182:183], v[148:151]// 000000003934: D3F30094 0E536D26
	v_mfma_f32_16x16x32_fp8_fp8 v[148:151], a[40:41], v[184:185], v[148:151]// 00000000393C: D3F30094 0E537128
	v_mfma_f32_16x16x32_fp8_fp8 v[148:151], a[42:43], v[186:187], v[148:151]// 000000003944: D3F30094 0E53752A
	buffer_load_dwordx4 a[108:111], v34, s[92:95], 0 offen offset:3072// 00000000394C: E05C1C00 80976C22
	v_mfma_f32_16x16x32_fp8_fp8 v[148:151], a[44:45], v[188:189], v[148:151]// 000000003954: D3F30094 0E53792C
	v_mfma_f32_16x16x32_fp8_fp8 v[148:151], a[46:47], v[190:191], v[148:151]// 00000000395C: D3F30094 0E537D2E
	s_waitcnt vmcnt(20)                                        // 000000003964: BF8C4F74
	v_mfma_f32_16x16x32_fp8_fp8 v[152:155], a[48:49], v[160:161], v[152:155]// 000000003968: D3F30098 0E634130
	v_mfma_f32_16x16x32_fp8_fp8 v[152:155], a[50:51], v[162:163], v[152:155]// 000000003970: D3F30098 0E634532
	buffer_load_dwordx4 a[112:115], v35, s[92:95], 0 offen     // 000000003978: E05C1000 80977023
	v_mfma_f32_16x16x32_fp8_fp8 v[152:155], a[52:53], v[164:165], v[152:155]// 000000003980: D3F30098 0E634934
	v_mfma_f32_16x16x32_fp8_fp8 v[152:155], a[54:55], v[166:167], v[152:155]// 000000003988: D3F30098 0E634D36
	v_mfma_f32_16x16x32_fp8_fp8 v[152:155], a[56:57], v[168:169], v[152:155]// 000000003990: D3F30098 0E635138
	v_mfma_f32_16x16x32_fp8_fp8 v[152:155], a[58:59], v[170:171], v[152:155]// 000000003998: D3F30098 0E63553A
	buffer_load_dwordx4 a[116:119], v35, s[92:95], 0 offen offset:1024// 0000000039A0: E05C1400 80977423
	v_mfma_f32_16x16x32_fp8_fp8 v[152:155], a[60:61], v[172:173], v[152:155]// 0000000039A8: D3F30098 0E63593C
	v_mfma_f32_16x16x32_fp8_fp8 v[152:155], a[62:63], v[174:175], v[152:155]// 0000000039B0: D3F30098 0E635D3E
	v_mfma_f32_16x16x32_fp8_fp8 v[156:159], a[48:49], v[176:177], v[156:159]// 0000000039B8: D3F3009C 0E736130
	v_mfma_f32_16x16x32_fp8_fp8 v[156:159], a[50:51], v[178:179], v[156:159]// 0000000039C0: D3F3009C 0E736532
	buffer_load_dwordx4 a[120:123], v35, s[92:95], 0 offen offset:2048// 0000000039C8: E05C1800 80977823
	v_mfma_f32_16x16x32_fp8_fp8 v[156:159], a[52:53], v[180:181], v[156:159]// 0000000039D0: D3F3009C 0E736934
	v_mfma_f32_16x16x32_fp8_fp8 v[156:159], a[54:55], v[182:183], v[156:159]// 0000000039D8: D3F3009C 0E736D36
	v_mfma_f32_16x16x32_fp8_fp8 v[156:159], a[56:57], v[184:185], v[156:159]// 0000000039E0: D3F3009C 0E737138
	v_mfma_f32_16x16x32_fp8_fp8 v[156:159], a[58:59], v[186:187], v[156:159]// 0000000039E8: D3F3009C 0E73753A
	buffer_load_dwordx4 a[124:127], v35, s[92:95], 0 offen offset:3072// 0000000039F0: E05C1C00 80977C23
	v_mfma_f32_16x16x32_fp8_fp8 v[156:159], a[60:61], v[188:189], v[156:159]// 0000000039F8: D3F3009C 0E73793C
	v_mfma_f32_16x16x32_fp8_fp8 v[156:159], a[62:63], v[190:191], v[156:159]// 000000003A00: D3F3009C 0E737D3E
	s_waitcnt vmcnt(8)                                         // 000000003A08: BF8C0F78
	s_barrier                                                  // 000000003A0C: BF8A0000
	v_mfma_f32_16x16x32_fp8_fp8 v[64:67], a[64:65], v[160:161], v[64:67]// 000000003A10: D3F30040 0D034140
	v_mfma_f32_16x16x32_fp8_fp8 v[64:67], a[66:67], v[162:163], v[64:67]// 000000003A18: D3F30040 0D034542
	buffer_load_dwordx4 a[0:3], v32, s[24:27], 0 offen         // 000000003A20: E05C1000 80860020
	v_mfma_f32_16x16x32_fp8_fp8 v[64:67], a[68:69], v[164:165], v[64:67]// 000000003A28: D3F30040 0D034944
	v_mfma_f32_16x16x32_fp8_fp8 v[64:67], a[70:71], v[166:167], v[64:67]// 000000003A30: D3F30040 0D034D46
	v_mfma_f32_16x16x32_fp8_fp8 v[64:67], a[72:73], v[168:169], v[64:67]// 000000003A38: D3F30040 0D035148
	v_mfma_f32_16x16x32_fp8_fp8 v[64:67], a[74:75], v[170:171], v[64:67]// 000000003A40: D3F30040 0D03554A
	buffer_load_dwordx4 a[4:7], v32, s[24:27], 0 offen offset:1024// 000000003A48: E05C1400 80860420
	v_mfma_f32_16x16x32_fp8_fp8 v[64:67], a[76:77], v[172:173], v[64:67]// 000000003A50: D3F30040 0D03594C
	v_mfma_f32_16x16x32_fp8_fp8 v[64:67], a[78:79], v[174:175], v[64:67]// 000000003A58: D3F30040 0D035D4E
	v_mfma_f32_16x16x32_fp8_fp8 v[68:71], a[64:65], v[176:177], v[68:71]// 000000003A60: D3F30044 0D136140
	v_mfma_f32_16x16x32_fp8_fp8 v[68:71], a[66:67], v[178:179], v[68:71]// 000000003A68: D3F30044 0D136542
	buffer_load_dwordx4 a[8:11], v32, s[24:27], 0 offen offset:2048// 000000003A70: E05C1800 80860820
	v_mfma_f32_16x16x32_fp8_fp8 v[68:71], a[68:69], v[180:181], v[68:71]// 000000003A78: D3F30044 0D136944
	v_mfma_f32_16x16x32_fp8_fp8 v[68:71], a[70:71], v[182:183], v[68:71]// 000000003A80: D3F30044 0D136D46
	v_mfma_f32_16x16x32_fp8_fp8 v[68:71], a[72:73], v[184:185], v[68:71]// 000000003A88: D3F30044 0D137148
	v_mfma_f32_16x16x32_fp8_fp8 v[68:71], a[74:75], v[186:187], v[68:71]// 000000003A90: D3F30044 0D13754A
	buffer_load_dwordx4 a[12:15], v32, s[24:27], 0 offen offset:3072// 000000003A98: E05C1C00 80860C20
	v_mfma_f32_16x16x32_fp8_fp8 v[68:71], a[76:77], v[188:189], v[68:71]// 000000003AA0: D3F30044 0D13794C
	v_mfma_f32_16x16x32_fp8_fp8 v[68:71], a[78:79], v[190:191], v[68:71]// 000000003AA8: D3F30044 0D137D4E
	v_mfma_f32_16x16x32_fp8_fp8 v[72:75], a[80:81], v[160:161], v[72:75]// 000000003AB0: D3F30048 0D234150
	v_mfma_f32_16x16x32_fp8_fp8 v[72:75], a[82:83], v[162:163], v[72:75]// 000000003AB8: D3F30048 0D234552
	buffer_load_dwordx4 a[16:19], v33, s[24:27], 0 offen       // 000000003AC0: E05C1000 80861021
	v_mfma_f32_16x16x32_fp8_fp8 v[72:75], a[84:85], v[164:165], v[72:75]// 000000003AC8: D3F30048 0D234954
	v_mfma_f32_16x16x32_fp8_fp8 v[72:75], a[86:87], v[166:167], v[72:75]// 000000003AD0: D3F30048 0D234D56
	v_mfma_f32_16x16x32_fp8_fp8 v[72:75], a[88:89], v[168:169], v[72:75]// 000000003AD8: D3F30048 0D235158
	v_mfma_f32_16x16x32_fp8_fp8 v[72:75], a[90:91], v[170:171], v[72:75]// 000000003AE0: D3F30048 0D23555A
	buffer_load_dwordx4 a[20:23], v33, s[24:27], 0 offen offset:1024// 000000003AE8: E05C1400 80861421
	v_mfma_f32_16x16x32_fp8_fp8 v[72:75], a[92:93], v[172:173], v[72:75]// 000000003AF0: D3F30048 0D23595C
	v_mfma_f32_16x16x32_fp8_fp8 v[72:75], a[94:95], v[174:175], v[72:75]// 000000003AF8: D3F30048 0D235D5E
	v_mfma_f32_16x16x32_fp8_fp8 v[76:79], a[80:81], v[176:177], v[76:79]// 000000003B00: D3F3004C 0D336150
	v_mfma_f32_16x16x32_fp8_fp8 v[76:79], a[82:83], v[178:179], v[76:79]// 000000003B08: D3F3004C 0D336552
	buffer_load_dwordx4 a[24:27], v33, s[24:27], 0 offen offset:2048// 000000003B10: E05C1800 80861821
	v_mfma_f32_16x16x32_fp8_fp8 v[76:79], a[84:85], v[180:181], v[76:79]// 000000003B18: D3F3004C 0D336954
	v_mfma_f32_16x16x32_fp8_fp8 v[76:79], a[86:87], v[182:183], v[76:79]// 000000003B20: D3F3004C 0D336D56
	v_mfma_f32_16x16x32_fp8_fp8 v[76:79], a[88:89], v[184:185], v[76:79]// 000000003B28: D3F3004C 0D337158
	v_mfma_f32_16x16x32_fp8_fp8 v[76:79], a[90:91], v[186:187], v[76:79]// 000000003B30: D3F3004C 0D33755A
	buffer_load_dwordx4 a[28:31], v33, s[24:27], 0 offen offset:3072// 000000003B38: E05C1C00 80861C21
	v_mfma_f32_16x16x32_fp8_fp8 v[76:79], a[92:93], v[188:189], v[76:79]// 000000003B40: D3F3004C 0D33795C
	v_mfma_f32_16x16x32_fp8_fp8 v[76:79], a[94:95], v[190:191], v[76:79]// 000000003B48: D3F3004C 0D337D5E
	s_waitcnt vmcnt(12)                                        // 000000003B50: BF8C0F7C
	v_mfma_f32_16x16x32_fp8_fp8 v[80:83], a[96:97], v[160:161], v[80:83]// 000000003B54: D3F30050 0D434160
	v_mfma_f32_16x16x32_fp8_fp8 v[80:83], a[98:99], v[162:163], v[80:83]// 000000003B5C: D3F30050 0D434562
	buffer_load_dwordx4 a[32:35], v34, s[24:27], 0 offen       // 000000003B64: E05C1000 80862022
	v_mfma_f32_16x16x32_fp8_fp8 v[80:83], a[100:101], v[164:165], v[80:83]// 000000003B6C: D3F30050 0D434964
	v_mfma_f32_16x16x32_fp8_fp8 v[80:83], a[102:103], v[166:167], v[80:83]// 000000003B74: D3F30050 0D434D66
	ds_read_b128 v[192:195], v2 offset:8320                    // 000000003B7C: D9FE2080 C0000002
	v_mfma_f32_16x16x32_fp8_fp8 v[80:83], a[104:105], v[168:169], v[80:83]// 000000003B84: D3F30050 0D435168
	v_mfma_f32_16x16x32_fp8_fp8 v[80:83], a[106:107], v[170:171], v[80:83]// 000000003B8C: D3F30050 0D43556A
	buffer_load_dwordx4 a[36:39], v34, s[24:27], 0 offen offset:1024// 000000003B94: E05C1400 80862422
	v_mfma_f32_16x16x32_fp8_fp8 v[80:83], a[108:109], v[172:173], v[80:83]// 000000003B9C: D3F30050 0D43596C
	v_mfma_f32_16x16x32_fp8_fp8 v[80:83], a[110:111], v[174:175], v[80:83]// 000000003BA4: D3F30050 0D435D6E
	ds_read_b128 v[196:199], v2 offset:8384                    // 000000003BAC: D9FE20C0 C4000002
	v_mfma_f32_16x16x32_fp8_fp8 v[84:87], a[96:97], v[176:177], v[84:87]// 000000003BB4: D3F30054 0D536160
	v_mfma_f32_16x16x32_fp8_fp8 v[84:87], a[98:99], v[178:179], v[84:87]// 000000003BBC: D3F30054 0D536562
	buffer_load_dwordx4 a[40:43], v34, s[24:27], 0 offen offset:2048// 000000003BC4: E05C1800 80862822
	v_mfma_f32_16x16x32_fp8_fp8 v[84:87], a[100:101], v[180:181], v[84:87]// 000000003BCC: D3F30054 0D536964
	v_mfma_f32_16x16x32_fp8_fp8 v[84:87], a[102:103], v[182:183], v[84:87]// 000000003BD4: D3F30054 0D536D66
	ds_read_b128 v[200:203], v2 offset:8448                    // 000000003BDC: D9FE2100 C8000002
	v_mfma_f32_16x16x32_fp8_fp8 v[84:87], a[104:105], v[184:185], v[84:87]// 000000003BE4: D3F30054 0D537168
	v_mfma_f32_16x16x32_fp8_fp8 v[84:87], a[106:107], v[186:187], v[84:87]// 000000003BEC: D3F30054 0D53756A
	buffer_load_dwordx4 a[44:47], v34, s[24:27], 0 offen offset:3072// 000000003BF4: E05C1C00 80862C22
	v_mfma_f32_16x16x32_fp8_fp8 v[84:87], a[108:109], v[188:189], v[84:87]// 000000003BFC: D3F30054 0D53796C
	v_mfma_f32_16x16x32_fp8_fp8 v[84:87], a[110:111], v[190:191], v[84:87]// 000000003C04: D3F30054 0D537D6E
	ds_read_b128 v[204:207], v2 offset:8512                    // 000000003C0C: D9FE2140 CC000002
	s_waitcnt vmcnt(12)                                        // 000000003C14: BF8C0F7C
	v_mfma_f32_16x16x32_fp8_fp8 v[88:91], a[112:113], v[160:161], v[88:91]// 000000003C18: D3F30058 0D634170
	v_mfma_f32_16x16x32_fp8_fp8 v[88:91], a[114:115], v[162:163], v[88:91]// 000000003C20: D3F30058 0D634572
	buffer_load_dwordx4 a[48:51], v35, s[24:27], 0 offen       // 000000003C28: E05C1000 80863023
	v_mfma_f32_16x16x32_fp8_fp8 v[88:91], a[116:117], v[164:165], v[88:91]// 000000003C30: D3F30058 0D634974
	v_mfma_f32_16x16x32_fp8_fp8 v[88:91], a[118:119], v[166:167], v[88:91]// 000000003C38: D3F30058 0D634D76
	ds_read_b128 v[208:211], v2 offset:9344                    // 000000003C40: D9FE2480 D0000002
	v_mfma_f32_16x16x32_fp8_fp8 v[88:91], a[120:121], v[168:169], v[88:91]// 000000003C48: D3F30058 0D635178
	v_mfma_f32_16x16x32_fp8_fp8 v[88:91], a[122:123], v[170:171], v[88:91]// 000000003C50: D3F30058 0D63557A
	buffer_load_dwordx4 a[52:55], v35, s[24:27], 0 offen offset:1024// 000000003C58: E05C1400 80863423
	v_mfma_f32_16x16x32_fp8_fp8 v[88:91], a[124:125], v[172:173], v[88:91]// 000000003C60: D3F30058 0D63597C
	v_mfma_f32_16x16x32_fp8_fp8 v[88:91], a[126:127], v[174:175], v[88:91]// 000000003C68: D3F30058 0D635D7E
	ds_read_b128 v[212:215], v2 offset:9408                    // 000000003C70: D9FE24C0 D4000002
	v_mfma_f32_16x16x32_fp8_fp8 v[92:95], a[112:113], v[176:177], v[92:95]// 000000003C78: D3F3005C 0D736170
	v_mfma_f32_16x16x32_fp8_fp8 v[92:95], a[114:115], v[178:179], v[92:95]// 000000003C80: D3F3005C 0D736572
	buffer_load_dwordx4 a[56:59], v35, s[24:27], 0 offen offset:2048// 000000003C88: E05C1800 80863823
	v_mfma_f32_16x16x32_fp8_fp8 v[92:95], a[116:117], v[180:181], v[92:95]// 000000003C90: D3F3005C 0D736974
	v_mfma_f32_16x16x32_fp8_fp8 v[92:95], a[118:119], v[182:183], v[92:95]// 000000003C98: D3F3005C 0D736D76
	ds_read_b128 v[216:219], v2 offset:9472                    // 000000003CA0: D9FE2500 D8000002
	v_mfma_f32_16x16x32_fp8_fp8 v[92:95], a[120:121], v[184:185], v[92:95]// 000000003CA8: D3F3005C 0D737178
	v_mfma_f32_16x16x32_fp8_fp8 v[92:95], a[122:123], v[186:187], v[92:95]// 000000003CB0: D3F3005C 0D73757A
	buffer_load_dwordx4 a[60:63], v35, s[24:27], 0 offen offset:3072// 000000003CB8: E05C1C00 80863C23
	v_mfma_f32_16x16x32_fp8_fp8 v[92:95], a[124:125], v[188:189], v[92:95]// 000000003CC0: D3F3005C 0D73797C
	v_mfma_f32_16x16x32_fp8_fp8 v[92:95], a[126:127], v[190:191], v[92:95]// 000000003CC8: D3F3005C 0D737D7E
	ds_read_b128 v[220:223], v2 offset:9536                    // 000000003CD0: D9FE2540 DC000002
	s_add_u32 s60, 0x200, s80                                  // 000000003CD8: 803C50FF 00000200
	s_cmp_lt_u32 s60, s81                                      // 000000003CE0: BF0A513C
	s_cselect_b32 s57, s57, 0                                  // 000000003CE4: 85398039
	s_add_u32 s60, 0x200, s80                                  // 000000003CE8: 803C50FF 00000200
	s_cmp_lt_u32 s60, s81                                      // 000000003CF0: BF0A513C
	s_cselect_b32 s58, s58, 0                                  // 000000003CF4: 853A803A
	s_add_u32 s20, s57, s20                                    // 000000003CF8: 80141439
	s_addc_u32 s21, 0, s21                                     // 000000003CFC: 82151580
	s_add_u32 s24, s58, s24                                    // 000000003D00: 8018183A
	s_addc_u32 s25, 0, s25                                     // 000000003D04: 82191980
	s_add_u32 s92, s90, s92                                    // 000000003D08: 805C5C5A
	s_addc_u32 s93, 0, s93                                     // 000000003D0C: 825D5D80
	s_addk_i32 s80, 0x100                                      // 000000003D10: B7500100
	s_cmp_lt_i32 s80, s81                                      // 000000003D14: BF045150
	s_cbranch_scc0 label_0550                                  // 000000003D18: BF840189
	s_waitcnt vmcnt(8) lgkmcnt(0)                              // 000000003D1C: BF8C0078
	s_barrier                                                  // 000000003D20: BF8A0000
	v_mfma_f32_16x16x32_fp8_fp8 v[128:131], a[0:1], v[192:193], v[128:131]// 000000003D24: D3F30080 0E038100
	v_mfma_f32_16x16x32_fp8_fp8 v[128:131], a[2:3], v[194:195], v[128:131]// 000000003D2C: D3F30080 0E038502
	buffer_load_dwordx4 a[64:67], v32, s[92:95], 0 offen       // 000000003D34: E05C1000 80974020
	v_mfma_f32_16x16x32_fp8_fp8 v[128:131], a[4:5], v[196:197], v[128:131]// 000000003D3C: D3F30080 0E038904
	v_mfma_f32_16x16x32_fp8_fp8 v[128:131], a[6:7], v[198:199], v[128:131]// 000000003D44: D3F30080 0E038D06
	buffer_load_dword v24, s[20:23], 0 offen lds               // 000000003D4C: E0511000 80050018
	s_add_u32 m0, 0x100, s50                                   // 000000003D54: 807C32FF 00000100
	v_mfma_f32_16x16x32_fp8_fp8 v[128:131], a[8:9], v[200:201], v[128:131]// 000000003D5C: D3F30080 0E039108
	v_mfma_f32_16x16x32_fp8_fp8 v[128:131], a[10:11], v[202:203], v[128:131]// 000000003D64: D3F30080 0E03950A
	buffer_load_dwordx4 a[68:71], v32, s[92:95], 0 offen offset:1024// 000000003D6C: E05C1400 80974420
	v_mfma_f32_16x16x32_fp8_fp8 v[128:131], a[12:13], v[204:205], v[128:131]// 000000003D74: D3F30080 0E03990C
	v_mfma_f32_16x16x32_fp8_fp8 v[128:131], a[14:15], v[206:207], v[128:131]// 000000003D7C: D3F30080 0E039D0E
	buffer_load_dword v25, s[20:23], 0 offen lds               // 000000003D84: E0511000 80050019
	s_add_u32 m0, 0x200, s50                                   // 000000003D8C: 807C32FF 00000200
	v_mfma_f32_16x16x32_fp8_fp8 v[132:135], a[0:1], v[208:209], v[132:135]// 000000003D94: D3F30084 0E13A100
	v_mfma_f32_16x16x32_fp8_fp8 v[132:135], a[2:3], v[210:211], v[132:135]// 000000003D9C: D3F30084 0E13A502
	buffer_load_dwordx4 a[72:75], v32, s[92:95], 0 offen offset:2048// 000000003DA4: E05C1800 80974820
	v_mfma_f32_16x16x32_fp8_fp8 v[132:135], a[4:5], v[212:213], v[132:135]// 000000003DAC: D3F30084 0E13A904
	v_mfma_f32_16x16x32_fp8_fp8 v[132:135], a[6:7], v[214:215], v[132:135]// 000000003DB4: D3F30084 0E13AD06
	buffer_load_dword v26, s[20:23], 0 offen lds               // 000000003DBC: E0511000 8005001A
	s_add_u32 m0, 0x300, s50                                   // 000000003DC4: 807C32FF 00000300
	v_mfma_f32_16x16x32_fp8_fp8 v[132:135], a[8:9], v[216:217], v[132:135]// 000000003DCC: D3F30084 0E13B108
	v_mfma_f32_16x16x32_fp8_fp8 v[132:135], a[10:11], v[218:219], v[132:135]// 000000003DD4: D3F30084 0E13B50A
	buffer_load_dwordx4 a[76:79], v32, s[92:95], 0 offen offset:3072// 000000003DDC: E05C1C00 80974C20
	v_mfma_f32_16x16x32_fp8_fp8 v[132:135], a[12:13], v[220:221], v[132:135]// 000000003DE4: D3F30084 0E13B90C
	v_mfma_f32_16x16x32_fp8_fp8 v[132:135], a[14:15], v[222:223], v[132:135]// 000000003DEC: D3F30084 0E13BD0E
	buffer_load_dword v27, s[20:23], 0 offen lds               // 000000003DF4: E0511000 8005001B
	s_add_u32 m0, 0x400, s50                                   // 000000003DFC: 807C32FF 00000400
	v_mfma_f32_16x16x32_fp8_fp8 v[136:139], a[16:17], v[192:193], v[136:139]// 000000003E04: D3F30088 0E238110
	v_mfma_f32_16x16x32_fp8_fp8 v[136:139], a[18:19], v[194:195], v[136:139]// 000000003E0C: D3F30088 0E238512
	buffer_load_dwordx4 a[80:83], v33, s[92:95], 0 offen       // 000000003E14: E05C1000 80975021
	v_mfma_f32_16x16x32_fp8_fp8 v[136:139], a[20:21], v[196:197], v[136:139]// 000000003E1C: D3F30088 0E238914
	v_mfma_f32_16x16x32_fp8_fp8 v[136:139], a[22:23], v[198:199], v[136:139]// 000000003E24: D3F30088 0E238D16
	buffer_load_dword v28, s[20:23], 0 offen lds               // 000000003E2C: E0511000 8005001C
	s_add_u32 m0, 0x500, s50                                   // 000000003E34: 807C32FF 00000500
	v_mfma_f32_16x16x32_fp8_fp8 v[136:139], a[24:25], v[200:201], v[136:139]// 000000003E3C: D3F30088 0E239118
	v_mfma_f32_16x16x32_fp8_fp8 v[136:139], a[26:27], v[202:203], v[136:139]// 000000003E44: D3F30088 0E23951A
	buffer_load_dwordx4 a[84:87], v33, s[92:95], 0 offen offset:1024// 000000003E4C: E05C1400 80975421
	v_mfma_f32_16x16x32_fp8_fp8 v[136:139], a[28:29], v[204:205], v[136:139]// 000000003E54: D3F30088 0E23991C
	v_mfma_f32_16x16x32_fp8_fp8 v[136:139], a[30:31], v[206:207], v[136:139]// 000000003E5C: D3F30088 0E239D1E
	buffer_load_dword v29, s[20:23], 0 offen lds               // 000000003E64: E0511000 8005001D
	s_add_u32 m0, 0x600, s50                                   // 000000003E6C: 807C32FF 00000600
	v_mfma_f32_16x16x32_fp8_fp8 v[140:143], a[16:17], v[208:209], v[140:143]// 000000003E74: D3F3008C 0E33A110
	v_mfma_f32_16x16x32_fp8_fp8 v[140:143], a[18:19], v[210:211], v[140:143]// 000000003E7C: D3F3008C 0E33A512
	buffer_load_dwordx4 a[88:91], v33, s[92:95], 0 offen offset:2048// 000000003E84: E05C1800 80975821
	v_mfma_f32_16x16x32_fp8_fp8 v[140:143], a[20:21], v[212:213], v[140:143]// 000000003E8C: D3F3008C 0E33A914
	v_mfma_f32_16x16x32_fp8_fp8 v[140:143], a[22:23], v[214:215], v[140:143]// 000000003E94: D3F3008C 0E33AD16
	buffer_load_dword v30, s[20:23], 0 offen lds               // 000000003E9C: E0511000 8005001E
	s_add_u32 m0, 0x700, s50                                   // 000000003EA4: 807C32FF 00000700
	v_mfma_f32_16x16x32_fp8_fp8 v[140:143], a[24:25], v[216:217], v[140:143]// 000000003EAC: D3F3008C 0E33B118
	v_mfma_f32_16x16x32_fp8_fp8 v[140:143], a[26:27], v[218:219], v[140:143]// 000000003EB4: D3F3008C 0E33B51A
	buffer_load_dwordx4 a[92:95], v33, s[92:95], 0 offen offset:3072// 000000003EBC: E05C1C00 80975C21
	v_mfma_f32_16x16x32_fp8_fp8 v[140:143], a[28:29], v[220:221], v[140:143]// 000000003EC4: D3F3008C 0E33B91C
	v_mfma_f32_16x16x32_fp8_fp8 v[140:143], a[30:31], v[222:223], v[140:143]// 000000003ECC: D3F3008C 0E33BD1E
	buffer_load_dword v31, s[20:23], 0 offen lds               // 000000003ED4: E0511000 8005001F
	s_add_u32 m0, 0, s51                                       // 000000003EDC: 807C3380
	s_waitcnt vmcnt(20)                                        // 000000003EE0: BF8C4F74
	v_mfma_f32_16x16x32_fp8_fp8 v[144:147], a[32:33], v[192:193], v[144:147]// 000000003EE4: D3F30090 0E438120
	v_mfma_f32_16x16x32_fp8_fp8 v[144:147], a[34:35], v[194:195], v[144:147]// 000000003EEC: D3F30090 0E438522
	buffer_load_dwordx4 a[96:99], v34, s[92:95], 0 offen       // 000000003EF4: E05C1000 80976022
	v_mfma_f32_16x16x32_fp8_fp8 v[144:147], a[36:37], v[196:197], v[144:147]// 000000003EFC: D3F30090 0E438924
	v_mfma_f32_16x16x32_fp8_fp8 v[144:147], a[38:39], v[198:199], v[144:147]// 000000003F04: D3F30090 0E438D26
	v_mfma_f32_16x16x32_fp8_fp8 v[144:147], a[40:41], v[200:201], v[144:147]// 000000003F0C: D3F30090 0E439128
	v_mfma_f32_16x16x32_fp8_fp8 v[144:147], a[42:43], v[202:203], v[144:147]// 000000003F14: D3F30090 0E43952A
	buffer_load_dwordx4 a[100:103], v34, s[92:95], 0 offen offset:1024// 000000003F1C: E05C1400 80976422
	v_mfma_f32_16x16x32_fp8_fp8 v[144:147], a[44:45], v[204:205], v[144:147]// 000000003F24: D3F30090 0E43992C
	v_mfma_f32_16x16x32_fp8_fp8 v[144:147], a[46:47], v[206:207], v[144:147]// 000000003F2C: D3F30090 0E439D2E
	v_mfma_f32_16x16x32_fp8_fp8 v[148:151], a[32:33], v[208:209], v[148:151]// 000000003F34: D3F30094 0E53A120
	v_mfma_f32_16x16x32_fp8_fp8 v[148:151], a[34:35], v[210:211], v[148:151]// 000000003F3C: D3F30094 0E53A522
	buffer_load_dwordx4 a[104:107], v34, s[92:95], 0 offen offset:2048// 000000003F44: E05C1800 80976822
	v_mfma_f32_16x16x32_fp8_fp8 v[148:151], a[36:37], v[212:213], v[148:151]// 000000003F4C: D3F30094 0E53A924
	v_mfma_f32_16x16x32_fp8_fp8 v[148:151], a[38:39], v[214:215], v[148:151]// 000000003F54: D3F30094 0E53AD26
	v_mfma_f32_16x16x32_fp8_fp8 v[148:151], a[40:41], v[216:217], v[148:151]// 000000003F5C: D3F30094 0E53B128
	v_mfma_f32_16x16x32_fp8_fp8 v[148:151], a[42:43], v[218:219], v[148:151]// 000000003F64: D3F30094 0E53B52A
	buffer_load_dwordx4 a[108:111], v34, s[92:95], 0 offen offset:3072// 000000003F6C: E05C1C00 80976C22
	v_mfma_f32_16x16x32_fp8_fp8 v[148:151], a[44:45], v[220:221], v[148:151]// 000000003F74: D3F30094 0E53B92C
	v_mfma_f32_16x16x32_fp8_fp8 v[148:151], a[46:47], v[222:223], v[148:151]// 000000003F7C: D3F30094 0E53BD2E
	s_waitcnt vmcnt(20)                                        // 000000003F84: BF8C4F74
	v_mfma_f32_16x16x32_fp8_fp8 v[152:155], a[48:49], v[192:193], v[152:155]// 000000003F88: D3F30098 0E638130
	v_mfma_f32_16x16x32_fp8_fp8 v[152:155], a[50:51], v[194:195], v[152:155]// 000000003F90: D3F30098 0E638532
	buffer_load_dwordx4 a[112:115], v35, s[92:95], 0 offen     // 000000003F98: E05C1000 80977023
	v_mfma_f32_16x16x32_fp8_fp8 v[152:155], a[52:53], v[196:197], v[152:155]// 000000003FA0: D3F30098 0E638934
	v_mfma_f32_16x16x32_fp8_fp8 v[152:155], a[54:55], v[198:199], v[152:155]// 000000003FA8: D3F30098 0E638D36
	v_mfma_f32_16x16x32_fp8_fp8 v[152:155], a[56:57], v[200:201], v[152:155]// 000000003FB0: D3F30098 0E639138
	v_mfma_f32_16x16x32_fp8_fp8 v[152:155], a[58:59], v[202:203], v[152:155]// 000000003FB8: D3F30098 0E63953A
	buffer_load_dwordx4 a[116:119], v35, s[92:95], 0 offen offset:1024// 000000003FC0: E05C1400 80977423
	v_mfma_f32_16x16x32_fp8_fp8 v[152:155], a[60:61], v[204:205], v[152:155]// 000000003FC8: D3F30098 0E63993C
	v_mfma_f32_16x16x32_fp8_fp8 v[152:155], a[62:63], v[206:207], v[152:155]// 000000003FD0: D3F30098 0E639D3E
	v_mfma_f32_16x16x32_fp8_fp8 v[156:159], a[48:49], v[208:209], v[156:159]// 000000003FD8: D3F3009C 0E73A130
	v_mfma_f32_16x16x32_fp8_fp8 v[156:159], a[50:51], v[210:211], v[156:159]// 000000003FE0: D3F3009C 0E73A532
	buffer_load_dwordx4 a[120:123], v35, s[92:95], 0 offen offset:2048// 000000003FE8: E05C1800 80977823
	v_mfma_f32_16x16x32_fp8_fp8 v[156:159], a[52:53], v[212:213], v[156:159]// 000000003FF0: D3F3009C 0E73A934
	v_mfma_f32_16x16x32_fp8_fp8 v[156:159], a[54:55], v[214:215], v[156:159]// 000000003FF8: D3F3009C 0E73AD36
	v_mfma_f32_16x16x32_fp8_fp8 v[156:159], a[56:57], v[216:217], v[156:159]// 000000004000: D3F3009C 0E73B138
	v_mfma_f32_16x16x32_fp8_fp8 v[156:159], a[58:59], v[218:219], v[156:159]// 000000004008: D3F3009C 0E73B53A
	buffer_load_dwordx4 a[124:127], v35, s[92:95], 0 offen offset:3072// 000000004010: E05C1C00 80977C23
	v_mfma_f32_16x16x32_fp8_fp8 v[156:159], a[60:61], v[220:221], v[156:159]// 000000004018: D3F3009C 0E73B93C
	v_mfma_f32_16x16x32_fp8_fp8 v[156:159], a[62:63], v[222:223], v[156:159]// 000000004020: D3F3009C 0E73BD3E
	s_waitcnt vmcnt(8)                                         // 000000004028: BF8C0F78
	s_barrier                                                  // 00000000402C: BF8A0000
	v_mfma_f32_16x16x32_fp8_fp8 v[64:67], a[64:65], v[192:193], v[64:67]// 000000004030: D3F30040 0D038140
	v_mfma_f32_16x16x32_fp8_fp8 v[64:67], a[66:67], v[194:195], v[64:67]// 000000004038: D3F30040 0D038542
	buffer_load_dwordx4 a[0:3], v32, s[24:27], 0 offen         // 000000004040: E05C1000 80860020
	v_mfma_f32_16x16x32_fp8_fp8 v[64:67], a[68:69], v[196:197], v[64:67]// 000000004048: D3F30040 0D038944
	v_mfma_f32_16x16x32_fp8_fp8 v[64:67], a[70:71], v[198:199], v[64:67]// 000000004050: D3F30040 0D038D46
	v_mfma_f32_16x16x32_fp8_fp8 v[64:67], a[72:73], v[200:201], v[64:67]// 000000004058: D3F30040 0D039148
	v_mfma_f32_16x16x32_fp8_fp8 v[64:67], a[74:75], v[202:203], v[64:67]// 000000004060: D3F30040 0D03954A
	buffer_load_dwordx4 a[4:7], v32, s[24:27], 0 offen offset:1024// 000000004068: E05C1400 80860420
	v_mfma_f32_16x16x32_fp8_fp8 v[64:67], a[76:77], v[204:205], v[64:67]// 000000004070: D3F30040 0D03994C
	v_mfma_f32_16x16x32_fp8_fp8 v[64:67], a[78:79], v[206:207], v[64:67]// 000000004078: D3F30040 0D039D4E
	v_mfma_f32_16x16x32_fp8_fp8 v[68:71], a[64:65], v[208:209], v[68:71]// 000000004080: D3F30044 0D13A140
	v_mfma_f32_16x16x32_fp8_fp8 v[68:71], a[66:67], v[210:211], v[68:71]// 000000004088: D3F30044 0D13A542
	buffer_load_dwordx4 a[8:11], v32, s[24:27], 0 offen offset:2048// 000000004090: E05C1800 80860820
	v_mfma_f32_16x16x32_fp8_fp8 v[68:71], a[68:69], v[212:213], v[68:71]// 000000004098: D3F30044 0D13A944
	v_mfma_f32_16x16x32_fp8_fp8 v[68:71], a[70:71], v[214:215], v[68:71]// 0000000040A0: D3F30044 0D13AD46
	v_mfma_f32_16x16x32_fp8_fp8 v[68:71], a[72:73], v[216:217], v[68:71]// 0000000040A8: D3F30044 0D13B148
	v_mfma_f32_16x16x32_fp8_fp8 v[68:71], a[74:75], v[218:219], v[68:71]// 0000000040B0: D3F30044 0D13B54A
	buffer_load_dwordx4 a[12:15], v32, s[24:27], 0 offen offset:3072// 0000000040B8: E05C1C00 80860C20
	v_mfma_f32_16x16x32_fp8_fp8 v[68:71], a[76:77], v[220:221], v[68:71]// 0000000040C0: D3F30044 0D13B94C
	v_mfma_f32_16x16x32_fp8_fp8 v[68:71], a[78:79], v[222:223], v[68:71]// 0000000040C8: D3F30044 0D13BD4E
	v_mfma_f32_16x16x32_fp8_fp8 v[72:75], a[80:81], v[192:193], v[72:75]// 0000000040D0: D3F30048 0D238150
	v_mfma_f32_16x16x32_fp8_fp8 v[72:75], a[82:83], v[194:195], v[72:75]// 0000000040D8: D3F30048 0D238552
	buffer_load_dwordx4 a[16:19], v33, s[24:27], 0 offen       // 0000000040E0: E05C1000 80861021
	v_mfma_f32_16x16x32_fp8_fp8 v[72:75], a[84:85], v[196:197], v[72:75]// 0000000040E8: D3F30048 0D238954
	v_mfma_f32_16x16x32_fp8_fp8 v[72:75], a[86:87], v[198:199], v[72:75]// 0000000040F0: D3F30048 0D238D56
	v_mfma_f32_16x16x32_fp8_fp8 v[72:75], a[88:89], v[200:201], v[72:75]// 0000000040F8: D3F30048 0D239158
	v_mfma_f32_16x16x32_fp8_fp8 v[72:75], a[90:91], v[202:203], v[72:75]// 000000004100: D3F30048 0D23955A
	buffer_load_dwordx4 a[20:23], v33, s[24:27], 0 offen offset:1024// 000000004108: E05C1400 80861421
	v_mfma_f32_16x16x32_fp8_fp8 v[72:75], a[92:93], v[204:205], v[72:75]// 000000004110: D3F30048 0D23995C
	v_mfma_f32_16x16x32_fp8_fp8 v[72:75], a[94:95], v[206:207], v[72:75]// 000000004118: D3F30048 0D239D5E
	v_mfma_f32_16x16x32_fp8_fp8 v[76:79], a[80:81], v[208:209], v[76:79]// 000000004120: D3F3004C 0D33A150
	v_mfma_f32_16x16x32_fp8_fp8 v[76:79], a[82:83], v[210:211], v[76:79]// 000000004128: D3F3004C 0D33A552
	buffer_load_dwordx4 a[24:27], v33, s[24:27], 0 offen offset:2048// 000000004130: E05C1800 80861821
	v_mfma_f32_16x16x32_fp8_fp8 v[76:79], a[84:85], v[212:213], v[76:79]// 000000004138: D3F3004C 0D33A954
	v_mfma_f32_16x16x32_fp8_fp8 v[76:79], a[86:87], v[214:215], v[76:79]// 000000004140: D3F3004C 0D33AD56
	v_mfma_f32_16x16x32_fp8_fp8 v[76:79], a[88:89], v[216:217], v[76:79]// 000000004148: D3F3004C 0D33B158
	v_mfma_f32_16x16x32_fp8_fp8 v[76:79], a[90:91], v[218:219], v[76:79]// 000000004150: D3F3004C 0D33B55A
	buffer_load_dwordx4 a[28:31], v33, s[24:27], 0 offen offset:3072// 000000004158: E05C1C00 80861C21
	v_mfma_f32_16x16x32_fp8_fp8 v[76:79], a[92:93], v[220:221], v[76:79]// 000000004160: D3F3004C 0D33B95C
	v_mfma_f32_16x16x32_fp8_fp8 v[76:79], a[94:95], v[222:223], v[76:79]// 000000004168: D3F3004C 0D33BD5E
	s_waitcnt vmcnt(12)                                        // 000000004170: BF8C0F7C
	v_mfma_f32_16x16x32_fp8_fp8 v[80:83], a[96:97], v[192:193], v[80:83]// 000000004174: D3F30050 0D438160
	v_mfma_f32_16x16x32_fp8_fp8 v[80:83], a[98:99], v[194:195], v[80:83]// 00000000417C: D3F30050 0D438562
	buffer_load_dwordx4 a[32:35], v34, s[24:27], 0 offen       // 000000004184: E05C1000 80862022
	v_mfma_f32_16x16x32_fp8_fp8 v[80:83], a[100:101], v[196:197], v[80:83]// 00000000418C: D3F30050 0D438964
	v_mfma_f32_16x16x32_fp8_fp8 v[80:83], a[102:103], v[198:199], v[80:83]// 000000004194: D3F30050 0D438D66
	ds_read_b128 v[160:163], v2                                // 00000000419C: D9FE0000 A0000002
	v_mfma_f32_16x16x32_fp8_fp8 v[80:83], a[104:105], v[200:201], v[80:83]// 0000000041A4: D3F30050 0D439168
	v_mfma_f32_16x16x32_fp8_fp8 v[80:83], a[106:107], v[202:203], v[80:83]// 0000000041AC: D3F30050 0D43956A
	buffer_load_dwordx4 a[36:39], v34, s[24:27], 0 offen offset:1024// 0000000041B4: E05C1400 80862422
	v_mfma_f32_16x16x32_fp8_fp8 v[80:83], a[108:109], v[204:205], v[80:83]// 0000000041BC: D3F30050 0D43996C
	v_mfma_f32_16x16x32_fp8_fp8 v[80:83], a[110:111], v[206:207], v[80:83]// 0000000041C4: D3F30050 0D439D6E
	ds_read_b128 v[164:167], v2 offset:64                      // 0000000041CC: D9FE0040 A4000002
	v_mfma_f32_16x16x32_fp8_fp8 v[84:87], a[96:97], v[208:209], v[84:87]// 0000000041D4: D3F30054 0D53A160
	v_mfma_f32_16x16x32_fp8_fp8 v[84:87], a[98:99], v[210:211], v[84:87]// 0000000041DC: D3F30054 0D53A562
	buffer_load_dwordx4 a[40:43], v34, s[24:27], 0 offen offset:2048// 0000000041E4: E05C1800 80862822
	v_mfma_f32_16x16x32_fp8_fp8 v[84:87], a[100:101], v[212:213], v[84:87]// 0000000041EC: D3F30054 0D53A964
	v_mfma_f32_16x16x32_fp8_fp8 v[84:87], a[102:103], v[214:215], v[84:87]// 0000000041F4: D3F30054 0D53AD66
	ds_read_b128 v[168:171], v2 offset:128                     // 0000000041FC: D9FE0080 A8000002
	v_mfma_f32_16x16x32_fp8_fp8 v[84:87], a[104:105], v[216:217], v[84:87]// 000000004204: D3F30054 0D53B168
	v_mfma_f32_16x16x32_fp8_fp8 v[84:87], a[106:107], v[218:219], v[84:87]// 00000000420C: D3F30054 0D53B56A
	buffer_load_dwordx4 a[44:47], v34, s[24:27], 0 offen offset:3072// 000000004214: E05C1C00 80862C22
	v_mfma_f32_16x16x32_fp8_fp8 v[84:87], a[108:109], v[220:221], v[84:87]// 00000000421C: D3F30054 0D53B96C
	v_mfma_f32_16x16x32_fp8_fp8 v[84:87], a[110:111], v[222:223], v[84:87]// 000000004224: D3F30054 0D53BD6E
	ds_read_b128 v[172:175], v2 offset:192                     // 00000000422C: D9FE00C0 AC000002
	s_waitcnt vmcnt(12)                                        // 000000004234: BF8C0F7C
	v_mfma_f32_16x16x32_fp8_fp8 v[88:91], a[112:113], v[192:193], v[88:91]// 000000004238: D3F30058 0D638170
	v_mfma_f32_16x16x32_fp8_fp8 v[88:91], a[114:115], v[194:195], v[88:91]// 000000004240: D3F30058 0D638572
	buffer_load_dwordx4 a[48:51], v35, s[24:27], 0 offen       // 000000004248: E05C1000 80863023
	v_mfma_f32_16x16x32_fp8_fp8 v[88:91], a[116:117], v[196:197], v[88:91]// 000000004250: D3F30058 0D638974
	v_mfma_f32_16x16x32_fp8_fp8 v[88:91], a[118:119], v[198:199], v[88:91]// 000000004258: D3F30058 0D638D76
	ds_read_b128 v[176:179], v2 offset:1024                    // 000000004260: D9FE0400 B0000002
	v_mfma_f32_16x16x32_fp8_fp8 v[88:91], a[120:121], v[200:201], v[88:91]// 000000004268: D3F30058 0D639178
	v_mfma_f32_16x16x32_fp8_fp8 v[88:91], a[122:123], v[202:203], v[88:91]// 000000004270: D3F30058 0D63957A
	buffer_load_dwordx4 a[52:55], v35, s[24:27], 0 offen offset:1024// 000000004278: E05C1400 80863423
	v_mfma_f32_16x16x32_fp8_fp8 v[88:91], a[124:125], v[204:205], v[88:91]// 000000004280: D3F30058 0D63997C
	v_mfma_f32_16x16x32_fp8_fp8 v[88:91], a[126:127], v[206:207], v[88:91]// 000000004288: D3F30058 0D639D7E
	ds_read_b128 v[180:183], v2 offset:1088                    // 000000004290: D9FE0440 B4000002
	v_mfma_f32_16x16x32_fp8_fp8 v[92:95], a[112:113], v[208:209], v[92:95]// 000000004298: D3F3005C 0D73A170
	v_mfma_f32_16x16x32_fp8_fp8 v[92:95], a[114:115], v[210:211], v[92:95]// 0000000042A0: D3F3005C 0D73A572
	buffer_load_dwordx4 a[56:59], v35, s[24:27], 0 offen offset:2048// 0000000042A8: E05C1800 80863823
	v_mfma_f32_16x16x32_fp8_fp8 v[92:95], a[116:117], v[212:213], v[92:95]// 0000000042B0: D3F3005C 0D73A974
	v_mfma_f32_16x16x32_fp8_fp8 v[92:95], a[118:119], v[214:215], v[92:95]// 0000000042B8: D3F3005C 0D73AD76
	ds_read_b128 v[184:187], v2 offset:1152                    // 0000000042C0: D9FE0480 B8000002
	v_mfma_f32_16x16x32_fp8_fp8 v[92:95], a[120:121], v[216:217], v[92:95]// 0000000042C8: D3F3005C 0D73B178
	v_mfma_f32_16x16x32_fp8_fp8 v[92:95], a[122:123], v[218:219], v[92:95]// 0000000042D0: D3F3005C 0D73B57A
	buffer_load_dwordx4 a[60:63], v35, s[24:27], 0 offen offset:3072// 0000000042D8: E05C1C00 80863C23
	v_mfma_f32_16x16x32_fp8_fp8 v[92:95], a[124:125], v[220:221], v[92:95]// 0000000042E0: D3F3005C 0D73B97C
	v_mfma_f32_16x16x32_fp8_fp8 v[92:95], a[126:127], v[222:223], v[92:95]// 0000000042E8: D3F3005C 0D73BD7E
	ds_read_b128 v[188:191], v2 offset:1216                    // 0000000042F0: D9FE04C0 BC000002
	s_add_u32 s60, 0x200, s80                                  // 0000000042F8: 803C50FF 00000200
	s_cmp_lt_u32 s60, s81                                      // 000000004300: BF0A513C
	s_cselect_b32 s57, s57, 0                                  // 000000004304: 85398039
	s_add_u32 s60, 0x200, s80                                  // 000000004308: 803C50FF 00000200
	s_cmp_lt_u32 s60, s81                                      // 000000004310: BF0A513C
	s_cselect_b32 s58, s58, 0                                  // 000000004314: 853A803A
	s_add_u32 s20, s57, s20                                    // 000000004318: 80141439
	s_addc_u32 s21, 0, s21                                     // 00000000431C: 82151580
	s_add_u32 s24, s58, s24                                    // 000000004320: 8018183A
	s_addc_u32 s25, 0, s25                                     // 000000004324: 82191980
	s_add_u32 s92, s90, s92                                    // 000000004328: 805C5C5A
	s_addc_u32 s93, 0, s93                                     // 00000000432C: 825D5D80
	s_addk_i32 s80, 0x100                                      // 000000004330: B7500100
	s_cmp_lt_i32 s80, s81                                      // 000000004334: BF045150
	s_cbranch_scc0 label_0550                                  // 000000004338: BF840001
	s_branch label_023F                                        // 00000000433C: BF82FCEF

0000000000004340 <label_0550>:
	s_mov_b32 s20, 0                                           // 000000004340: BE940080
	s_cmp_lt_u32 s89, s66                                      // 000000004344: BF0A4259
	s_cselect_b32 s60, 0, 1                                    // 000000004348: 853C8180
	s_lshl1_add_u32 s20, s20, s60                              // 00000000434C: 97143C14
	s_cmp_lt_u32 s88, s66                                      // 000000004350: BF0A4258
	s_cselect_b32 s60, 0, 1                                    // 000000004354: 853C8180
	s_lshl1_add_u32 s20, s20, s60                              // 000000004358: 97143C14
	s_cmp_lt_u32 s87, s66                                      // 00000000435C: BF0A4257
	s_cselect_b32 s60, 0, 1                                    // 000000004360: 853C8180
	s_lshl1_add_u32 s20, s20, s60                              // 000000004364: 97143C14
	s_cmp_lt_u32 s86, s66                                      // 000000004368: BF0A4256
	s_cselect_b32 s60, 0, 1                                    // 00000000436C: 853C8180
	s_lshl1_add_u32 s20, s20, s60                              // 000000004370: 97143C14
	s_cmp_lt_u32 s85, s66                                      // 000000004374: BF0A4255
	s_cselect_b32 s60, 0, 1                                    // 000000004378: 853C8180
	s_lshl1_add_u32 s20, s20, s60                              // 00000000437C: 97143C14
	s_cmp_lt_u32 s84, s66                                      // 000000004380: BF0A4254
	s_cselect_b32 s60, 0, 1                                    // 000000004384: 853C8180
	s_lshl1_add_u32 s20, s20, s60                              // 000000004388: 97143C14
	s_cmp_lt_u32 s83, s66                                      // 00000000438C: BF0A4253
	s_cselect_b32 s60, 0, 1                                    // 000000004390: 853C8180
	s_lshl1_add_u32 s20, s20, s60                              // 000000004394: 97143C14
	s_cmp_lt_u32 s82, s66                                      // 000000004398: BF0A4252
	s_cselect_b32 s60, 0, 1                                    // 00000000439C: 853C8180
	s_lshl1_add_u32 s20, s20, s60                              // 0000000043A0: 97143C14
	v_mul_f32_e32 v128, v13, v128                              // 0000000043A4: 0B01010D
	v_mul_f32_e32 v129, v13, v129                              // 0000000043A8: 0B03030D
	v_mul_f32_e32 v130, v13, v130                              // 0000000043AC: 0B05050D
	v_mul_f32_e32 v131, v13, v131                              // 0000000043B0: 0B07070D
	v_mul_f32_dpp v128, v15, v128 row_newbcast:0 row_mask:0xf bank_mask:0xf// 0000000043B4: 0B0100FA FF01500F
	v_mul_f32_dpp v129, v15, v129 row_newbcast:1 row_mask:0xf bank_mask:0xf// 0000000043BC: 0B0302FA FF01510F
	v_mul_f32_dpp v130, v15, v130 row_newbcast:2 row_mask:0xf bank_mask:0xf// 0000000043C4: 0B0504FA FF01520F
	v_mul_f32_dpp v131, v15, v131 row_newbcast:3 row_mask:0xf bank_mask:0xf// 0000000043CC: 0B0706FA FF01530F
	v_mul_f32_e32 v132, v14, v132                              // 0000000043D4: 0B09090E
	v_mul_f32_e32 v133, v14, v133                              // 0000000043D8: 0B0B0B0E
	v_mul_f32_e32 v134, v14, v134                              // 0000000043DC: 0B0D0D0E
	v_mul_f32_e32 v135, v14, v135                              // 0000000043E0: 0B0F0F0E
	v_mul_f32_dpp v132, v15, v132 row_newbcast:0 row_mask:0xf bank_mask:0xf// 0000000043E4: 0B0908FA FF01500F
	v_mul_f32_dpp v133, v15, v133 row_newbcast:1 row_mask:0xf bank_mask:0xf// 0000000043EC: 0B0B0AFA FF01510F
	v_mul_f32_dpp v134, v15, v134 row_newbcast:2 row_mask:0xf bank_mask:0xf// 0000000043F4: 0B0D0CFA FF01520F
	v_mul_f32_dpp v135, v15, v135 row_newbcast:3 row_mask:0xf bank_mask:0xf// 0000000043FC: 0B0F0EFA FF01530F
	v_mul_f32_e32 v136, v13, v136                              // 000000004404: 0B11110D
	v_mul_f32_e32 v137, v13, v137                              // 000000004408: 0B13130D
	v_mul_f32_e32 v138, v13, v138                              // 00000000440C: 0B15150D
	v_mul_f32_e32 v139, v13, v139                              // 000000004410: 0B17170D
	v_mul_f32_dpp v136, v15, v136 row_newbcast:4 row_mask:0xf bank_mask:0xf// 000000004414: 0B1110FA FF01540F
	v_mul_f32_dpp v137, v15, v137 row_newbcast:5 row_mask:0xf bank_mask:0xf// 00000000441C: 0B1312FA FF01550F
	v_mul_f32_dpp v138, v15, v138 row_newbcast:6 row_mask:0xf bank_mask:0xf// 000000004424: 0B1514FA FF01560F
	v_mul_f32_dpp v139, v15, v139 row_newbcast:7 row_mask:0xf bank_mask:0xf// 00000000442C: 0B1716FA FF01570F
	v_mul_f32_e32 v140, v14, v140                              // 000000004434: 0B19190E
	v_mul_f32_e32 v141, v14, v141                              // 000000004438: 0B1B1B0E
	v_mul_f32_e32 v142, v14, v142                              // 00000000443C: 0B1D1D0E
	v_mul_f32_e32 v143, v14, v143                              // 000000004440: 0B1F1F0E
	v_mul_f32_dpp v140, v15, v140 row_newbcast:4 row_mask:0xf bank_mask:0xf// 000000004444: 0B1918FA FF01540F
	v_mul_f32_dpp v141, v15, v141 row_newbcast:5 row_mask:0xf bank_mask:0xf// 00000000444C: 0B1B1AFA FF01550F
	v_mul_f32_dpp v142, v15, v142 row_newbcast:6 row_mask:0xf bank_mask:0xf// 000000004454: 0B1D1CFA FF01560F
	v_mul_f32_dpp v143, v15, v143 row_newbcast:7 row_mask:0xf bank_mask:0xf// 00000000445C: 0B1F1EFA FF01570F
	v_mul_f32_e32 v144, v13, v144                              // 000000004464: 0B21210D
	v_mul_f32_e32 v145, v13, v145                              // 000000004468: 0B23230D
	v_mul_f32_e32 v146, v13, v146                              // 00000000446C: 0B25250D
	v_mul_f32_e32 v147, v13, v147                              // 000000004470: 0B27270D
	v_mul_f32_dpp v144, v15, v144 row_newbcast:8 row_mask:0xf bank_mask:0xf// 000000004474: 0B2120FA FF01580F
	v_mul_f32_dpp v145, v15, v145 row_newbcast:9 row_mask:0xf bank_mask:0xf// 00000000447C: 0B2322FA FF01590F
	v_mul_f32_dpp v146, v15, v146 row_newbcast:10 row_mask:0xf bank_mask:0xf// 000000004484: 0B2524FA FF015A0F
	v_mul_f32_dpp v147, v15, v147 row_newbcast:11 row_mask:0xf bank_mask:0xf// 00000000448C: 0B2726FA FF015B0F
	v_mul_f32_e32 v148, v14, v148                              // 000000004494: 0B29290E
	v_mul_f32_e32 v149, v14, v149                              // 000000004498: 0B2B2B0E
	v_mul_f32_e32 v150, v14, v150                              // 00000000449C: 0B2D2D0E
	v_mul_f32_e32 v151, v14, v151                              // 0000000044A0: 0B2F2F0E
	v_mul_f32_dpp v148, v15, v148 row_newbcast:8 row_mask:0xf bank_mask:0xf// 0000000044A4: 0B2928FA FF01580F
	v_mul_f32_dpp v149, v15, v149 row_newbcast:9 row_mask:0xf bank_mask:0xf// 0000000044AC: 0B2B2AFA FF01590F
	v_mul_f32_dpp v150, v15, v150 row_newbcast:10 row_mask:0xf bank_mask:0xf// 0000000044B4: 0B2D2CFA FF015A0F
	v_mul_f32_dpp v151, v15, v151 row_newbcast:11 row_mask:0xf bank_mask:0xf// 0000000044BC: 0B2F2EFA FF015B0F
	v_mul_f32_e32 v152, v13, v152                              // 0000000044C4: 0B31310D
	v_mul_f32_e32 v153, v13, v153                              // 0000000044C8: 0B33330D
	v_mul_f32_e32 v154, v13, v154                              // 0000000044CC: 0B35350D
	v_mul_f32_e32 v155, v13, v155                              // 0000000044D0: 0B37370D
	v_mul_f32_dpp v152, v15, v152 row_newbcast:12 row_mask:0xf bank_mask:0xf// 0000000044D4: 0B3130FA FF015C0F
	v_mul_f32_dpp v153, v15, v153 row_newbcast:13 row_mask:0xf bank_mask:0xf// 0000000044DC: 0B3332FA FF015D0F
	v_mul_f32_dpp v154, v15, v154 row_newbcast:14 row_mask:0xf bank_mask:0xf// 0000000044E4: 0B3534FA FF015E0F
	v_mul_f32_dpp v155, v15, v155 row_newbcast:15 row_mask:0xf bank_mask:0xf// 0000000044EC: 0B3736FA FF015F0F
	v_mul_f32_e32 v156, v14, v156                              // 0000000044F4: 0B39390E
	v_mul_f32_e32 v157, v14, v157                              // 0000000044F8: 0B3B3B0E
	v_mul_f32_e32 v158, v14, v158                              // 0000000044FC: 0B3D3D0E
	v_mul_f32_e32 v159, v14, v159                              // 000000004500: 0B3F3F0E
	v_mul_f32_dpp v156, v15, v156 row_newbcast:12 row_mask:0xf bank_mask:0xf// 000000004504: 0B3938FA FF015C0F
	v_mul_f32_dpp v157, v15, v157 row_newbcast:13 row_mask:0xf bank_mask:0xf// 00000000450C: 0B3B3AFA FF015D0F
	v_mul_f32_dpp v158, v15, v158 row_newbcast:14 row_mask:0xf bank_mask:0xf// 000000004514: 0B3D3CFA FF015E0F
	v_mul_f32_dpp v159, v15, v159 row_newbcast:15 row_mask:0xf bank_mask:0xf// 00000000451C: 0B3F3EFA FF015F0F
	v_mul_f32_e32 v64, v13, v64                                // 000000004524: 0A80810D
	v_mul_f32_e32 v65, v13, v65                                // 000000004528: 0A82830D
	v_mul_f32_e32 v66, v13, v66                                // 00000000452C: 0A84850D
	v_mul_f32_e32 v67, v13, v67                                // 000000004530: 0A86870D
	v_mul_f32_dpp v64, v44, v64 row_newbcast:0 row_mask:0xf bank_mask:0xf// 000000004534: 0A8080FA FF01502C
	v_mul_f32_dpp v65, v44, v65 row_newbcast:1 row_mask:0xf bank_mask:0xf// 00000000453C: 0A8282FA FF01512C
	v_mul_f32_dpp v66, v44, v66 row_newbcast:2 row_mask:0xf bank_mask:0xf// 000000004544: 0A8484FA FF01522C
	v_mul_f32_dpp v67, v44, v67 row_newbcast:3 row_mask:0xf bank_mask:0xf// 00000000454C: 0A8686FA FF01532C
	v_mul_f32_e32 v68, v14, v68                                // 000000004554: 0A88890E
	v_mul_f32_e32 v69, v14, v69                                // 000000004558: 0A8A8B0E
	v_mul_f32_e32 v70, v14, v70                                // 00000000455C: 0A8C8D0E
	v_mul_f32_e32 v71, v14, v71                                // 000000004560: 0A8E8F0E
	v_mul_f32_dpp v68, v44, v68 row_newbcast:0 row_mask:0xf bank_mask:0xf// 000000004564: 0A8888FA FF01502C
	v_mul_f32_dpp v69, v44, v69 row_newbcast:1 row_mask:0xf bank_mask:0xf// 00000000456C: 0A8A8AFA FF01512C
	v_mul_f32_dpp v70, v44, v70 row_newbcast:2 row_mask:0xf bank_mask:0xf// 000000004574: 0A8C8CFA FF01522C
	v_mul_f32_dpp v71, v44, v71 row_newbcast:3 row_mask:0xf bank_mask:0xf// 00000000457C: 0A8E8EFA FF01532C
	v_mul_f32_e32 v72, v13, v72                                // 000000004584: 0A90910D
	v_mul_f32_e32 v73, v13, v73                                // 000000004588: 0A92930D
	v_mul_f32_e32 v74, v13, v74                                // 00000000458C: 0A94950D
	v_mul_f32_e32 v75, v13, v75                                // 000000004590: 0A96970D
	v_mul_f32_dpp v72, v44, v72 row_newbcast:4 row_mask:0xf bank_mask:0xf// 000000004594: 0A9090FA FF01542C
	v_mul_f32_dpp v73, v44, v73 row_newbcast:5 row_mask:0xf bank_mask:0xf// 00000000459C: 0A9292FA FF01552C
	v_mul_f32_dpp v74, v44, v74 row_newbcast:6 row_mask:0xf bank_mask:0xf// 0000000045A4: 0A9494FA FF01562C
	v_mul_f32_dpp v75, v44, v75 row_newbcast:7 row_mask:0xf bank_mask:0xf// 0000000045AC: 0A9696FA FF01572C
	v_mul_f32_e32 v76, v14, v76                                // 0000000045B4: 0A98990E
	v_mul_f32_e32 v77, v14, v77                                // 0000000045B8: 0A9A9B0E
	v_mul_f32_e32 v78, v14, v78                                // 0000000045BC: 0A9C9D0E
	v_mul_f32_e32 v79, v14, v79                                // 0000000045C0: 0A9E9F0E
	v_mul_f32_dpp v76, v44, v76 row_newbcast:4 row_mask:0xf bank_mask:0xf// 0000000045C4: 0A9898FA FF01542C
	v_mul_f32_dpp v77, v44, v77 row_newbcast:5 row_mask:0xf bank_mask:0xf// 0000000045CC: 0A9A9AFA FF01552C
	v_mul_f32_dpp v78, v44, v78 row_newbcast:6 row_mask:0xf bank_mask:0xf// 0000000045D4: 0A9C9CFA FF01562C
	v_mul_f32_dpp v79, v44, v79 row_newbcast:7 row_mask:0xf bank_mask:0xf// 0000000045DC: 0A9E9EFA FF01572C
	v_mul_f32_e32 v80, v13, v80                                // 0000000045E4: 0AA0A10D
	v_mul_f32_e32 v81, v13, v81                                // 0000000045E8: 0AA2A30D
	v_mul_f32_e32 v82, v13, v82                                // 0000000045EC: 0AA4A50D
	v_mul_f32_e32 v83, v13, v83                                // 0000000045F0: 0AA6A70D
	v_mul_f32_dpp v80, v44, v80 row_newbcast:8 row_mask:0xf bank_mask:0xf// 0000000045F4: 0AA0A0FA FF01582C
	v_mul_f32_dpp v81, v44, v81 row_newbcast:9 row_mask:0xf bank_mask:0xf// 0000000045FC: 0AA2A2FA FF01592C
	v_mul_f32_dpp v82, v44, v82 row_newbcast:10 row_mask:0xf bank_mask:0xf// 000000004604: 0AA4A4FA FF015A2C
	v_mul_f32_dpp v83, v44, v83 row_newbcast:11 row_mask:0xf bank_mask:0xf// 00000000460C: 0AA6A6FA FF015B2C
	v_mul_f32_e32 v84, v14, v84                                // 000000004614: 0AA8A90E
	v_mul_f32_e32 v85, v14, v85                                // 000000004618: 0AAAAB0E
	v_mul_f32_e32 v86, v14, v86                                // 00000000461C: 0AACAD0E
	v_mul_f32_e32 v87, v14, v87                                // 000000004620: 0AAEAF0E
	v_mul_f32_dpp v84, v44, v84 row_newbcast:8 row_mask:0xf bank_mask:0xf// 000000004624: 0AA8A8FA FF01582C
	v_mul_f32_dpp v85, v44, v85 row_newbcast:9 row_mask:0xf bank_mask:0xf// 00000000462C: 0AAAAAFA FF01592C
	v_mul_f32_dpp v86, v44, v86 row_newbcast:10 row_mask:0xf bank_mask:0xf// 000000004634: 0AACACFA FF015A2C
	v_mul_f32_dpp v87, v44, v87 row_newbcast:11 row_mask:0xf bank_mask:0xf// 00000000463C: 0AAEAEFA FF015B2C
	v_mul_f32_e32 v88, v13, v88                                // 000000004644: 0AB0B10D
	v_mul_f32_e32 v89, v13, v89                                // 000000004648: 0AB2B30D
	v_mul_f32_e32 v90, v13, v90                                // 00000000464C: 0AB4B50D
	v_mul_f32_e32 v91, v13, v91                                // 000000004650: 0AB6B70D
	v_mul_f32_dpp v88, v44, v88 row_newbcast:12 row_mask:0xf bank_mask:0xf// 000000004654: 0AB0B0FA FF015C2C
	v_mul_f32_dpp v89, v44, v89 row_newbcast:13 row_mask:0xf bank_mask:0xf// 00000000465C: 0AB2B2FA FF015D2C
	v_mul_f32_dpp v90, v44, v90 row_newbcast:14 row_mask:0xf bank_mask:0xf// 000000004664: 0AB4B4FA FF015E2C
	v_mul_f32_dpp v91, v44, v91 row_newbcast:15 row_mask:0xf bank_mask:0xf// 00000000466C: 0AB6B6FA FF015F2C
	v_mul_f32_e32 v92, v14, v92                                // 000000004674: 0AB8B90E
	v_mul_f32_e32 v93, v14, v93                                // 000000004678: 0ABABB0E
	v_mul_f32_e32 v94, v14, v94                                // 00000000467C: 0ABCBD0E
	v_mul_f32_e32 v95, v14, v95                                // 000000004680: 0ABEBF0E
	v_mul_f32_dpp v92, v44, v92 row_newbcast:12 row_mask:0xf bank_mask:0xf// 000000004684: 0AB8B8FA FF015C2C
	v_mul_f32_dpp v93, v44, v93 row_newbcast:13 row_mask:0xf bank_mask:0xf// 00000000468C: 0ABABAFA FF015D2C
	v_mul_f32_dpp v94, v44, v94 row_newbcast:14 row_mask:0xf bank_mask:0xf// 000000004694: 0ABCBCFA FF015E2C
	v_mul_f32_dpp v95, v44, v95 row_newbcast:15 row_mask:0xf bank_mask:0xf// 00000000469C: 0ABEBEFA FF015F2C
	s_waitcnt vmcnt(12)                                        // 0000000046A4: BF8C0F7C
	buffer_load_dwordx4 a[0:3], v36, s[12:15], 0 offen         // 0000000046A8: E05C1000 80830024
	v_mul_f32_e32 v46, v128, v128                              // 0000000046B0: 0A5D0180
	v_mul_f32_e32 v47, v129, v129                              // 0000000046B4: 0A5F0381
	v_mul_f32_e32 v48, v130, v130                              // 0000000046B8: 0A610582
	v_mul_f32_e32 v49, v131, v131                              // 0000000046BC: 0A630783
	v_fma_f32 v46, v46, s77, v1                                // 0000000046C0: D1CB002E 04049B2E
	v_fma_f32 v47, v47, s77, v1                                // 0000000046C8: D1CB002F 04049B2F
	v_fma_f32 v48, v48, s77, v1                                // 0000000046D0: D1CB0030 04049B30
	v_fma_f32 v49, v49, s77, v1                                // 0000000046D8: D1CB0031 04049B31
	v_mul_f32_e32 v46, v46, v128                               // 0000000046E0: 0A5D012E
	v_mul_f32_e32 v47, v47, v129                               // 0000000046E4: 0A5F032F
	v_mul_f32_e32 v48, v48, v130                               // 0000000046E8: 0A610530
	v_mul_f32_e32 v49, v49, v131                               // 0000000046EC: 0A630731
	v_mul_f32_e64 v46, v46, s6                                 // 0000000046F0: D105002E 00000D2E
	v_mul_f32_e64 v47, v47, s6                                 // 0000000046F8: D105002F 00000D2F
	v_mul_f32_e64 v48, v48, s6                                 // 000000004700: D1050030 00000D30
	v_mul_f32_e64 v49, v49, s6                                 // 000000004708: D1050031 00000D31
	v_exp_f32_e32 v46, v46                                     // 000000004710: 7E5C412E
	v_exp_f32_e32 v47, v47                                     // 000000004714: 7E5E412F
	v_exp_f32_e32 v48, v48                                     // 000000004718: 7E604130
	v_exp_f32_e32 v49, v49                                     // 00000000471C: 7E624131
	buffer_load_dwordx4 a[4:7], v37, s[12:15], 0 offen         // 000000004720: E05C1000 80830425
	v_add_f32_e64 v46, v46, 1.0                                // 000000004728: D101002E 0001E52E
	v_add_f32_e64 v47, v47, 1.0                                // 000000004730: D101002F 0001E52F
	v_add_f32_e64 v48, v48, 1.0                                // 000000004738: D1010030 0001E530
	v_add_f32_e64 v49, v49, 1.0                                // 000000004740: D1010031 0001E531
	v_rcp_f32_e32 v46, v46                                     // 000000004748: 7E5C452E
	v_rcp_f32_e32 v47, v47                                     // 00000000474C: 7E5E452F
	v_rcp_f32_e32 v48, v48                                     // 000000004750: 7E604530
	v_rcp_f32_e32 v49, v49                                     // 000000004754: 7E624531
	v_mul_f32_e32 v128, v128, v46                              // 000000004758: 0B005D80
	v_mul_f32_e32 v129, v129, v47                              // 00000000475C: 0B025F81
	v_mul_f32_e32 v130, v130, v48                              // 000000004760: 0B046182
	v_mul_f32_e32 v131, v131, v49                              // 000000004764: 0B066383
	v_mul_f32_e32 v128, v128, v64                              // 000000004768: 0B008180
	v_mul_f32_e32 v129, v129, v65                              // 00000000476C: 0B028381
	v_mul_f32_e32 v130, v130, v66                              // 000000004770: 0B048582
	v_mul_f32_e32 v131, v131, v67                              // 000000004774: 0B068783
	buffer_load_dwordx4 a[8:11], v38, s[12:15], 0 offen        // 000000004778: E05C1000 80830826
	v_mul_f32_e32 v46, v132, v132                              // 000000004780: 0A5D0984
	v_mul_f32_e32 v47, v133, v133                              // 000000004784: 0A5F0B85
	v_mul_f32_e32 v48, v134, v134                              // 000000004788: 0A610D86
	v_mul_f32_e32 v49, v135, v135                              // 00000000478C: 0A630F87
	v_fma_f32 v46, v46, s77, v1                                // 000000004790: D1CB002E 04049B2E
	v_fma_f32 v47, v47, s77, v1                                // 000000004798: D1CB002F 04049B2F
	v_fma_f32 v48, v48, s77, v1                                // 0000000047A0: D1CB0030 04049B30
	v_fma_f32 v49, v49, s77, v1                                // 0000000047A8: D1CB0031 04049B31
	v_mul_f32_e32 v46, v46, v132                               // 0000000047B0: 0A5D092E
	v_mul_f32_e32 v47, v47, v133                               // 0000000047B4: 0A5F0B2F
	v_mul_f32_e32 v48, v48, v134                               // 0000000047B8: 0A610D30
	v_mul_f32_e32 v49, v49, v135                               // 0000000047BC: 0A630F31
	v_mul_f32_e64 v46, v46, s6                                 // 0000000047C0: D105002E 00000D2E
	v_mul_f32_e64 v47, v47, s6                                 // 0000000047C8: D105002F 00000D2F
	v_mul_f32_e64 v48, v48, s6                                 // 0000000047D0: D1050030 00000D30
	v_mul_f32_e64 v49, v49, s6                                 // 0000000047D8: D1050031 00000D31
	v_exp_f32_e32 v46, v46                                     // 0000000047E0: 7E5C412E
	v_exp_f32_e32 v47, v47                                     // 0000000047E4: 7E5E412F
	v_exp_f32_e32 v48, v48                                     // 0000000047E8: 7E604130
	v_exp_f32_e32 v49, v49                                     // 0000000047EC: 7E624131
	buffer_load_dwordx4 a[12:15], v39, s[12:15], 0 offen       // 0000000047F0: E05C1000 80830C27
	s_add_u32 s12, s78, s12                                    // 0000000047F8: 800C0C4E
	s_addc_u32 s13, 0, s13                                     // 0000000047FC: 820D0D80
	v_add_f32_e64 v46, v46, 1.0                                // 000000004800: D101002E 0001E52E
	v_add_f32_e64 v47, v47, 1.0                                // 000000004808: D101002F 0001E52F
	v_add_f32_e64 v48, v48, 1.0                                // 000000004810: D1010030 0001E530
	v_add_f32_e64 v49, v49, 1.0                                // 000000004818: D1010031 0001E531
	v_rcp_f32_e32 v46, v46                                     // 000000004820: 7E5C452E
	v_rcp_f32_e32 v47, v47                                     // 000000004824: 7E5E452F
	v_rcp_f32_e32 v48, v48                                     // 000000004828: 7E604530
	v_rcp_f32_e32 v49, v49                                     // 00000000482C: 7E624531
	v_mul_f32_e32 v132, v132, v46                              // 000000004830: 0B085D84
	v_mul_f32_e32 v133, v133, v47                              // 000000004834: 0B0A5F85
	v_mul_f32_e32 v134, v134, v48                              // 000000004838: 0B0C6186
	v_mul_f32_e32 v135, v135, v49                              // 00000000483C: 0B0E6387
	v_mul_f32_e32 v132, v132, v68                              // 000000004840: 0B088984
	v_mul_f32_e32 v133, v133, v69                              // 000000004844: 0B0A8B85
	v_mul_f32_e32 v134, v134, v70                              // 000000004848: 0B0C8D86
	v_mul_f32_e32 v135, v135, v71                              // 00000000484C: 0B0E8F87
	s_waitcnt vmcnt(12)                                        // 000000004850: BF8C0F7C
	buffer_load_dwordx4 a[16:19], v36, s[12:15], 0 offen       // 000000004854: E05C1000 80831024
	v_mul_f32_e32 v46, v136, v136                              // 00000000485C: 0A5D1188
	v_mul_f32_e32 v47, v137, v137                              // 000000004860: 0A5F1389
	v_mul_f32_e32 v48, v138, v138                              // 000000004864: 0A61158A
	v_mul_f32_e32 v49, v139, v139                              // 000000004868: 0A63178B
	v_fma_f32 v46, v46, s77, v1                                // 00000000486C: D1CB002E 04049B2E
	v_fma_f32 v47, v47, s77, v1                                // 000000004874: D1CB002F 04049B2F
	v_fma_f32 v48, v48, s77, v1                                // 00000000487C: D1CB0030 04049B30
	v_fma_f32 v49, v49, s77, v1                                // 000000004884: D1CB0031 04049B31
	v_mul_f32_e32 v46, v46, v136                               // 00000000488C: 0A5D112E
	v_mul_f32_e32 v47, v47, v137                               // 000000004890: 0A5F132F
	v_mul_f32_e32 v48, v48, v138                               // 000000004894: 0A611530
	v_mul_f32_e32 v49, v49, v139                               // 000000004898: 0A631731
	v_mul_f32_e64 v46, v46, s6                                 // 00000000489C: D105002E 00000D2E
	v_mul_f32_e64 v47, v47, s6                                 // 0000000048A4: D105002F 00000D2F
	v_mul_f32_e64 v48, v48, s6                                 // 0000000048AC: D1050030 00000D30
	v_mul_f32_e64 v49, v49, s6                                 // 0000000048B4: D1050031 00000D31
	v_exp_f32_e32 v46, v46                                     // 0000000048BC: 7E5C412E
	v_exp_f32_e32 v47, v47                                     // 0000000048C0: 7E5E412F
	v_exp_f32_e32 v48, v48                                     // 0000000048C4: 7E604130
	v_exp_f32_e32 v49, v49                                     // 0000000048C8: 7E624131
	buffer_load_dwordx4 a[20:23], v37, s[12:15], 0 offen       // 0000000048CC: E05C1000 80831425
	v_add_f32_e64 v46, v46, 1.0                                // 0000000048D4: D101002E 0001E52E
	v_add_f32_e64 v47, v47, 1.0                                // 0000000048DC: D101002F 0001E52F
	v_add_f32_e64 v48, v48, 1.0                                // 0000000048E4: D1010030 0001E530
	v_add_f32_e64 v49, v49, 1.0                                // 0000000048EC: D1010031 0001E531
	v_rcp_f32_e32 v46, v46                                     // 0000000048F4: 7E5C452E
	v_rcp_f32_e32 v47, v47                                     // 0000000048F8: 7E5E452F
	v_rcp_f32_e32 v48, v48                                     // 0000000048FC: 7E604530
	v_rcp_f32_e32 v49, v49                                     // 000000004900: 7E624531
	v_mul_f32_e32 v136, v136, v46                              // 000000004904: 0B105D88
	v_mul_f32_e32 v137, v137, v47                              // 000000004908: 0B125F89
	v_mul_f32_e32 v138, v138, v48                              // 00000000490C: 0B14618A
	v_mul_f32_e32 v139, v139, v49                              // 000000004910: 0B16638B
	v_mul_f32_e32 v136, v136, v72                              // 000000004914: 0B109188
	v_mul_f32_e32 v137, v137, v73                              // 000000004918: 0B129389
	v_mul_f32_e32 v138, v138, v74                              // 00000000491C: 0B14958A
	v_mul_f32_e32 v139, v139, v75                              // 000000004920: 0B16978B
	buffer_load_dwordx4 a[24:27], v38, s[12:15], 0 offen       // 000000004924: E05C1000 80831826
	v_mul_f32_e32 v46, v140, v140                              // 00000000492C: 0A5D198C
	v_mul_f32_e32 v47, v141, v141                              // 000000004930: 0A5F1B8D
	v_mul_f32_e32 v48, v142, v142                              // 000000004934: 0A611D8E
	v_mul_f32_e32 v49, v143, v143                              // 000000004938: 0A631F8F
	v_fma_f32 v46, v46, s77, v1                                // 00000000493C: D1CB002E 04049B2E
	v_fma_f32 v47, v47, s77, v1                                // 000000004944: D1CB002F 04049B2F
	v_fma_f32 v48, v48, s77, v1                                // 00000000494C: D1CB0030 04049B30
	v_fma_f32 v49, v49, s77, v1                                // 000000004954: D1CB0031 04049B31
	v_mul_f32_e32 v46, v46, v140                               // 00000000495C: 0A5D192E
	v_mul_f32_e32 v47, v47, v141                               // 000000004960: 0A5F1B2F
	v_mul_f32_e32 v48, v48, v142                               // 000000004964: 0A611D30
	v_mul_f32_e32 v49, v49, v143                               // 000000004968: 0A631F31
	v_mul_f32_e64 v46, v46, s6                                 // 00000000496C: D105002E 00000D2E
	v_mul_f32_e64 v47, v47, s6                                 // 000000004974: D105002F 00000D2F
	v_mul_f32_e64 v48, v48, s6                                 // 00000000497C: D1050030 00000D30
	v_mul_f32_e64 v49, v49, s6                                 // 000000004984: D1050031 00000D31
	v_exp_f32_e32 v46, v46                                     // 00000000498C: 7E5C412E
	v_exp_f32_e32 v47, v47                                     // 000000004990: 7E5E412F
	v_exp_f32_e32 v48, v48                                     // 000000004994: 7E604130
	v_exp_f32_e32 v49, v49                                     // 000000004998: 7E624131
	buffer_load_dwordx4 a[28:31], v39, s[12:15], 0 offen       // 00000000499C: E05C1000 80831C27
	s_add_u32 s12, s78, s12                                    // 0000000049A4: 800C0C4E
	s_addc_u32 s13, 0, s13                                     // 0000000049A8: 820D0D80
	v_add_f32_e64 v46, v46, 1.0                                // 0000000049AC: D101002E 0001E52E
	v_add_f32_e64 v47, v47, 1.0                                // 0000000049B4: D101002F 0001E52F
	v_add_f32_e64 v48, v48, 1.0                                // 0000000049BC: D1010030 0001E530
	v_add_f32_e64 v49, v49, 1.0                                // 0000000049C4: D1010031 0001E531
	v_rcp_f32_e32 v46, v46                                     // 0000000049CC: 7E5C452E
	v_rcp_f32_e32 v47, v47                                     // 0000000049D0: 7E5E452F
	v_rcp_f32_e32 v48, v48                                     // 0000000049D4: 7E604530
	v_rcp_f32_e32 v49, v49                                     // 0000000049D8: 7E624531
	v_mul_f32_e32 v140, v140, v46                              // 0000000049DC: 0B185D8C
	v_mul_f32_e32 v141, v141, v47                              // 0000000049E0: 0B1A5F8D
	v_mul_f32_e32 v142, v142, v48                              // 0000000049E4: 0B1C618E
	v_mul_f32_e32 v143, v143, v49                              // 0000000049E8: 0B1E638F
	v_mul_f32_e32 v140, v140, v76                              // 0000000049EC: 0B18998C
	v_mul_f32_e32 v141, v141, v77                              // 0000000049F0: 0B1A9B8D
	v_mul_f32_e32 v142, v142, v78                              // 0000000049F4: 0B1C9D8E
	v_mul_f32_e32 v143, v143, v79                              // 0000000049F8: 0B1E9F8F
	s_waitcnt vmcnt(12)                                        // 0000000049FC: BF8C0F7C
	buffer_load_dwordx4 a[32:35], v36, s[12:15], 0 offen       // 000000004A00: E05C1000 80832024
	v_mul_f32_e32 v46, v144, v144                              // 000000004A08: 0A5D2190
	v_mul_f32_e32 v47, v145, v145                              // 000000004A0C: 0A5F2391
	v_mul_f32_e32 v48, v146, v146                              // 000000004A10: 0A612592
	v_mul_f32_e32 v49, v147, v147                              // 000000004A14: 0A632793
	v_fma_f32 v46, v46, s77, v1                                // 000000004A18: D1CB002E 04049B2E
	v_fma_f32 v47, v47, s77, v1                                // 000000004A20: D1CB002F 04049B2F
	v_fma_f32 v48, v48, s77, v1                                // 000000004A28: D1CB0030 04049B30
	v_fma_f32 v49, v49, s77, v1                                // 000000004A30: D1CB0031 04049B31
	v_mul_f32_e32 v46, v46, v144                               // 000000004A38: 0A5D212E
	v_mul_f32_e32 v47, v47, v145                               // 000000004A3C: 0A5F232F
	v_mul_f32_e32 v48, v48, v146                               // 000000004A40: 0A612530
	v_mul_f32_e32 v49, v49, v147                               // 000000004A44: 0A632731
	v_mul_f32_e64 v46, v46, s6                                 // 000000004A48: D105002E 00000D2E
	v_mul_f32_e64 v47, v47, s6                                 // 000000004A50: D105002F 00000D2F
	v_mul_f32_e64 v48, v48, s6                                 // 000000004A58: D1050030 00000D30
	v_mul_f32_e64 v49, v49, s6                                 // 000000004A60: D1050031 00000D31
	v_exp_f32_e32 v46, v46                                     // 000000004A68: 7E5C412E
	v_exp_f32_e32 v47, v47                                     // 000000004A6C: 7E5E412F
	v_exp_f32_e32 v48, v48                                     // 000000004A70: 7E604130
	v_exp_f32_e32 v49, v49                                     // 000000004A74: 7E624131
	buffer_load_dwordx4 a[36:39], v37, s[12:15], 0 offen       // 000000004A78: E05C1000 80832425
	v_add_f32_e64 v46, v46, 1.0                                // 000000004A80: D101002E 0001E52E
	v_add_f32_e64 v47, v47, 1.0                                // 000000004A88: D101002F 0001E52F
	v_add_f32_e64 v48, v48, 1.0                                // 000000004A90: D1010030 0001E530
	v_add_f32_e64 v49, v49, 1.0                                // 000000004A98: D1010031 0001E531
	v_rcp_f32_e32 v46, v46                                     // 000000004AA0: 7E5C452E
	v_rcp_f32_e32 v47, v47                                     // 000000004AA4: 7E5E452F
	v_rcp_f32_e32 v48, v48                                     // 000000004AA8: 7E604530
	v_rcp_f32_e32 v49, v49                                     // 000000004AAC: 7E624531
	v_mul_f32_e32 v144, v144, v46                              // 000000004AB0: 0B205D90
	v_mul_f32_e32 v145, v145, v47                              // 000000004AB4: 0B225F91
	v_mul_f32_e32 v146, v146, v48                              // 000000004AB8: 0B246192
	v_mul_f32_e32 v147, v147, v49                              // 000000004ABC: 0B266393
	v_mul_f32_e32 v144, v144, v80                              // 000000004AC0: 0B20A190
	v_mul_f32_e32 v145, v145, v81                              // 000000004AC4: 0B22A391
	v_mul_f32_e32 v146, v146, v82                              // 000000004AC8: 0B24A592
	v_mul_f32_e32 v147, v147, v83                              // 000000004ACC: 0B26A793
	buffer_load_dwordx4 a[40:43], v38, s[12:15], 0 offen       // 000000004AD0: E05C1000 80832826
	v_mul_f32_e32 v46, v148, v148                              // 000000004AD8: 0A5D2994
	v_mul_f32_e32 v47, v149, v149                              // 000000004ADC: 0A5F2B95
	v_mul_f32_e32 v48, v150, v150                              // 000000004AE0: 0A612D96
	v_mul_f32_e32 v49, v151, v151                              // 000000004AE4: 0A632F97
	v_fma_f32 v46, v46, s77, v1                                // 000000004AE8: D1CB002E 04049B2E
	v_fma_f32 v47, v47, s77, v1                                // 000000004AF0: D1CB002F 04049B2F
	v_fma_f32 v48, v48, s77, v1                                // 000000004AF8: D1CB0030 04049B30
	v_fma_f32 v49, v49, s77, v1                                // 000000004B00: D1CB0031 04049B31
	v_mul_f32_e32 v46, v46, v148                               // 000000004B08: 0A5D292E
	v_mul_f32_e32 v47, v47, v149                               // 000000004B0C: 0A5F2B2F
	v_mul_f32_e32 v48, v48, v150                               // 000000004B10: 0A612D30
	v_mul_f32_e32 v49, v49, v151                               // 000000004B14: 0A632F31
	v_mul_f32_e64 v46, v46, s6                                 // 000000004B18: D105002E 00000D2E
	v_mul_f32_e64 v47, v47, s6                                 // 000000004B20: D105002F 00000D2F
	v_mul_f32_e64 v48, v48, s6                                 // 000000004B28: D1050030 00000D30
	v_mul_f32_e64 v49, v49, s6                                 // 000000004B30: D1050031 00000D31
	v_exp_f32_e32 v46, v46                                     // 000000004B38: 7E5C412E
	v_exp_f32_e32 v47, v47                                     // 000000004B3C: 7E5E412F
	v_exp_f32_e32 v48, v48                                     // 000000004B40: 7E604130
	v_exp_f32_e32 v49, v49                                     // 000000004B44: 7E624131
	buffer_load_dwordx4 a[44:47], v39, s[12:15], 0 offen       // 000000004B48: E05C1000 80832C27
	s_add_u32 s12, s78, s12                                    // 000000004B50: 800C0C4E
	s_addc_u32 s13, 0, s13                                     // 000000004B54: 820D0D80
	v_add_f32_e64 v46, v46, 1.0                                // 000000004B58: D101002E 0001E52E
	v_add_f32_e64 v47, v47, 1.0                                // 000000004B60: D101002F 0001E52F
	v_add_f32_e64 v48, v48, 1.0                                // 000000004B68: D1010030 0001E530
	v_add_f32_e64 v49, v49, 1.0                                // 000000004B70: D1010031 0001E531
	v_rcp_f32_e32 v46, v46                                     // 000000004B78: 7E5C452E
	v_rcp_f32_e32 v47, v47                                     // 000000004B7C: 7E5E452F
	v_rcp_f32_e32 v48, v48                                     // 000000004B80: 7E604530
	v_rcp_f32_e32 v49, v49                                     // 000000004B84: 7E624531
	v_mul_f32_e32 v148, v148, v46                              // 000000004B88: 0B285D94
	v_mul_f32_e32 v149, v149, v47                              // 000000004B8C: 0B2A5F95
	v_mul_f32_e32 v150, v150, v48                              // 000000004B90: 0B2C6196
	v_mul_f32_e32 v151, v151, v49                              // 000000004B94: 0B2E6397
	v_mul_f32_e32 v148, v148, v84                              // 000000004B98: 0B28A994
	v_mul_f32_e32 v149, v149, v85                              // 000000004B9C: 0B2AAB95
	v_mul_f32_e32 v150, v150, v86                              // 000000004BA0: 0B2CAD96
	v_mul_f32_e32 v151, v151, v87                              // 000000004BA4: 0B2EAF97
	s_waitcnt vmcnt(12)                                        // 000000004BA8: BF8C0F7C
	buffer_load_dwordx4 a[48:51], v36, s[12:15], 0 offen       // 000000004BAC: E05C1000 80833024
	v_mul_f32_e32 v46, v152, v152                              // 000000004BB4: 0A5D3198
	v_mul_f32_e32 v47, v153, v153                              // 000000004BB8: 0A5F3399
	v_mul_f32_e32 v48, v154, v154                              // 000000004BBC: 0A61359A
	v_mul_f32_e32 v49, v155, v155                              // 000000004BC0: 0A63379B
	v_fma_f32 v46, v46, s77, v1                                // 000000004BC4: D1CB002E 04049B2E
	v_fma_f32 v47, v47, s77, v1                                // 000000004BCC: D1CB002F 04049B2F
	v_fma_f32 v48, v48, s77, v1                                // 000000004BD4: D1CB0030 04049B30
	v_fma_f32 v49, v49, s77, v1                                // 000000004BDC: D1CB0031 04049B31
	v_mul_f32_e32 v46, v46, v152                               // 000000004BE4: 0A5D312E
	v_mul_f32_e32 v47, v47, v153                               // 000000004BE8: 0A5F332F
	v_mul_f32_e32 v48, v48, v154                               // 000000004BEC: 0A613530
	v_mul_f32_e32 v49, v49, v155                               // 000000004BF0: 0A633731
	v_mul_f32_e64 v46, v46, s6                                 // 000000004BF4: D105002E 00000D2E
	v_mul_f32_e64 v47, v47, s6                                 // 000000004BFC: D105002F 00000D2F
	v_mul_f32_e64 v48, v48, s6                                 // 000000004C04: D1050030 00000D30
	v_mul_f32_e64 v49, v49, s6                                 // 000000004C0C: D1050031 00000D31
	v_exp_f32_e32 v46, v46                                     // 000000004C14: 7E5C412E
	v_exp_f32_e32 v47, v47                                     // 000000004C18: 7E5E412F
	v_exp_f32_e32 v48, v48                                     // 000000004C1C: 7E604130
	v_exp_f32_e32 v49, v49                                     // 000000004C20: 7E624131
	buffer_load_dwordx4 a[52:55], v37, s[12:15], 0 offen       // 000000004C24: E05C1000 80833425
	v_add_f32_e64 v46, v46, 1.0                                // 000000004C2C: D101002E 0001E52E
	v_add_f32_e64 v47, v47, 1.0                                // 000000004C34: D101002F 0001E52F
	v_add_f32_e64 v48, v48, 1.0                                // 000000004C3C: D1010030 0001E530
	v_add_f32_e64 v49, v49, 1.0                                // 000000004C44: D1010031 0001E531
	v_rcp_f32_e32 v46, v46                                     // 000000004C4C: 7E5C452E
	v_rcp_f32_e32 v47, v47                                     // 000000004C50: 7E5E452F
	v_rcp_f32_e32 v48, v48                                     // 000000004C54: 7E604530
	v_rcp_f32_e32 v49, v49                                     // 000000004C58: 7E624531
	v_mul_f32_e32 v152, v152, v46                              // 000000004C5C: 0B305D98
	v_mul_f32_e32 v153, v153, v47                              // 000000004C60: 0B325F99
	v_mul_f32_e32 v154, v154, v48                              // 000000004C64: 0B34619A
	v_mul_f32_e32 v155, v155, v49                              // 000000004C68: 0B36639B
	v_mul_f32_e32 v152, v152, v88                              // 000000004C6C: 0B30B198
	v_mul_f32_e32 v153, v153, v89                              // 000000004C70: 0B32B399
	v_mul_f32_e32 v154, v154, v90                              // 000000004C74: 0B34B59A
	v_mul_f32_e32 v155, v155, v91                              // 000000004C78: 0B36B79B
	buffer_load_dwordx4 a[56:59], v38, s[12:15], 0 offen       // 000000004C7C: E05C1000 80833826
	v_mul_f32_e32 v46, v156, v156                              // 000000004C84: 0A5D399C
	v_mul_f32_e32 v47, v157, v157                              // 000000004C88: 0A5F3B9D
	v_mul_f32_e32 v48, v158, v158                              // 000000004C8C: 0A613D9E
	v_mul_f32_e32 v49, v159, v159                              // 000000004C90: 0A633F9F
	v_fma_f32 v46, v46, s77, v1                                // 000000004C94: D1CB002E 04049B2E
	v_fma_f32 v47, v47, s77, v1                                // 000000004C9C: D1CB002F 04049B2F
	v_fma_f32 v48, v48, s77, v1                                // 000000004CA4: D1CB0030 04049B30
	v_fma_f32 v49, v49, s77, v1                                // 000000004CAC: D1CB0031 04049B31
	v_mul_f32_e32 v46, v46, v156                               // 000000004CB4: 0A5D392E
	v_mul_f32_e32 v47, v47, v157                               // 000000004CB8: 0A5F3B2F
	v_mul_f32_e32 v48, v48, v158                               // 000000004CBC: 0A613D30
	v_mul_f32_e32 v49, v49, v159                               // 000000004CC0: 0A633F31
	v_mul_f32_e64 v46, v46, s6                                 // 000000004CC4: D105002E 00000D2E
	v_mul_f32_e64 v47, v47, s6                                 // 000000004CCC: D105002F 00000D2F
	v_mul_f32_e64 v48, v48, s6                                 // 000000004CD4: D1050030 00000D30
	v_mul_f32_e64 v49, v49, s6                                 // 000000004CDC: D1050031 00000D31
	v_exp_f32_e32 v46, v46                                     // 000000004CE4: 7E5C412E
	v_exp_f32_e32 v47, v47                                     // 000000004CE8: 7E5E412F
	v_exp_f32_e32 v48, v48                                     // 000000004CEC: 7E604130
	v_exp_f32_e32 v49, v49                                     // 000000004CF0: 7E624131
	buffer_load_dwordx4 a[60:63], v39, s[12:15], 0 offen       // 000000004CF4: E05C1000 80833C27
	v_add_f32_e64 v46, v46, 1.0                                // 000000004CFC: D101002E 0001E52E
	v_add_f32_e64 v47, v47, 1.0                                // 000000004D04: D101002F 0001E52F
	v_add_f32_e64 v48, v48, 1.0                                // 000000004D0C: D1010030 0001E530
	v_add_f32_e64 v49, v49, 1.0                                // 000000004D14: D1010031 0001E531
	v_rcp_f32_e32 v46, v46                                     // 000000004D1C: 7E5C452E
	v_rcp_f32_e32 v47, v47                                     // 000000004D20: 7E5E452F
	v_rcp_f32_e32 v48, v48                                     // 000000004D24: 7E604530
	v_rcp_f32_e32 v49, v49                                     // 000000004D28: 7E624531
	v_mul_f32_e32 v156, v156, v46                              // 000000004D2C: 0B385D9C
	v_mul_f32_e32 v157, v157, v47                              // 000000004D30: 0B3A5F9D
	v_mul_f32_e32 v158, v158, v48                              // 000000004D34: 0B3C619E
	v_mul_f32_e32 v159, v159, v49                              // 000000004D38: 0B3E639F
	v_mul_f32_e32 v156, v156, v92                              // 000000004D3C: 0B38B99C
	v_mul_f32_e32 v157, v157, v93                              // 000000004D40: 0B3ABB9D
	v_mul_f32_e32 v158, v158, v94                              // 000000004D44: 0B3CBD9E
	v_mul_f32_e32 v159, v159, v95                              // 000000004D48: 0B3EBF9F
	v_lshlrev_b32_e32 v46, 2, v0                               // 000000004D4C: 245C0082
	s_mul_i32 s60, s82, s71                                    // 000000004D50: 923C4752
	v_add_u32_e64 v80, v46, s60                                // 000000004D54: D1340050 0000792E
	v_mov_b32_e32 v81, 0                                       // 000000004D5C: 7EA20280
	s_mul_i32 s60, s83, s71                                    // 000000004D60: 923C4753
	v_add_u32_e64 v82, v46, s60                                // 000000004D64: D1340052 0000792E
	v_mov_b32_e32 v83, 0                                       // 000000004D6C: 7EA60280
	s_mul_i32 s60, s84, s71                                    // 000000004D70: 923C4754
	v_add_u32_e64 v84, v46, s60                                // 000000004D74: D1340054 0000792E
	v_mov_b32_e32 v85, 0                                       // 000000004D7C: 7EAA0280
	s_mul_i32 s60, s85, s71                                    // 000000004D80: 923C4755
	v_add_u32_e64 v86, v46, s60                                // 000000004D84: D1340056 0000792E
	v_mov_b32_e32 v87, 0                                       // 000000004D8C: 7EAE0280
	s_mul_i32 s60, s86, s71                                    // 000000004D90: 923C4756
	v_add_u32_e64 v88, v46, s60                                // 000000004D94: D1340058 0000792E
	v_mov_b32_e32 v89, 0                                       // 000000004D9C: 7EB20280
	s_mul_i32 s60, s87, s71                                    // 000000004DA0: 923C4757
	v_add_u32_e64 v90, v46, s60                                // 000000004DA4: D134005A 0000792E
	v_mov_b32_e32 v91, 0                                       // 000000004DAC: 7EB60280
	s_mul_i32 s60, s88, s71                                    // 000000004DB0: 923C4758
	v_add_u32_e64 v92, v46, s60                                // 000000004DB4: D134005C 0000792E
	v_mov_b32_e32 v93, 0                                       // 000000004DBC: 7EBA0280
	s_mul_i32 s60, s89, s71                                    // 000000004DC0: 923C4759
	v_add_u32_e64 v94, v46, s60                                // 000000004DC4: D134005E 0000792E
	v_mov_b32_e32 v95, 0                                       // 000000004DCC: 7EBE0280
	buffer_load_dword v11, v5, s[16:19], 0 offen               // 000000004DD0: E0501000 80040B05
	v_mov_b32_e32 v20, 0x358637bd                              // 000000004DD8: 7E2802FF 358637BD
	v_mov_b32_e32 v21, 0x358637bd                              // 000000004DE0: 7E2A02FF 358637BD
	v_max3_f32 v20, |v128|, |v129|, v20                        // 000000004DE8: D1D30314 04530380
	v_max3_f32 v20, |v130|, |v131|, v20                        // 000000004DF0: D1D30314 04530782
	v_max3_f32 v21, |v132|, |v133|, v21                        // 000000004DF8: D1D30315 04570B84
	v_max3_f32 v21, |v134|, |v135|, v21                        // 000000004E00: D1D30315 04570F86
	v_max3_f32 v20, |v136|, |v137|, v20                        // 000000004E08: D1D30314 04531388
	v_max3_f32 v20, |v138|, |v139|, v20                        // 000000004E10: D1D30314 0453178A
	v_max3_f32 v21, |v140|, |v141|, v21                        // 000000004E18: D1D30315 04571B8C
	v_max3_f32 v21, |v142|, |v143|, v21                        // 000000004E20: D1D30315 04571F8E
	v_max3_f32 v20, |v144|, |v145|, v20                        // 000000004E28: D1D30314 04532390
	v_max3_f32 v20, |v146|, |v147|, v20                        // 000000004E30: D1D30314 04532792
	v_max3_f32 v21, |v148|, |v149|, v21                        // 000000004E38: D1D30315 04572B94
	v_max3_f32 v21, |v150|, |v151|, v21                        // 000000004E40: D1D30315 04572F96
	v_max3_f32 v20, |v152|, |v153|, v20                        // 000000004E48: D1D30314 04533398
	v_max3_f32 v20, |v154|, |v155|, v20                        // 000000004E50: D1D30314 0453379A
	v_max3_f32 v21, |v156|, |v157|, v21                        // 000000004E58: D1D30315 04573B9C
	v_max3_f32 v21, |v158|, |v159|, v21                        // 000000004E60: D1D30315 04573F9E
	v_lshlrev_b32_e32 v46, 3, v0                               // 000000004E68: 245C0083
	s_mul_i32 s60, 0x200, s7                                   // 000000004E6C: 923C07FF 00000200
	v_add_u32_e32 v46, s60, v46                                // 000000004E74: 685C5C3C
	ds_write_b64 v46, v[20:21] offset:16640                    // 000000004E78: D89A4100 0000142E
	s_waitcnt lgkmcnt(0)                                       // 000000004E80: BF8CC07F
	s_barrier                                                  // 000000004E84: BF8A0000
	v_and_b32_e32 v46, 15, v0                                  // 000000004E88: 265C008F
	v_lshlrev_b32_e32 v46, 3, v46                              // 000000004E8C: 245C5C83
	ds_read_b64 v[96:97], v46 offset:16640                     // 000000004E90: D8EC4100 6000002E
	ds_read_b64 v[98:99], v46 offset:16768                     // 000000004E98: D8EC4180 6200002E
	ds_read_b64 v[100:101], v46 offset:16896                   // 000000004EA0: D8EC4200 6400002E
	ds_read_b64 v[102:103], v46 offset:17024                   // 000000004EA8: D8EC4280 6600002E
	ds_read_b64 v[104:105], v46 offset:17152                   // 000000004EB0: D8EC4300 6800002E
	ds_read_b64 v[106:107], v46 offset:17280                   // 000000004EB8: D8EC4380 6A00002E
	ds_read_b64 v[108:109], v46 offset:17408                   // 000000004EC0: D8EC4400 6C00002E
	ds_read_b64 v[110:111], v46 offset:17536                   // 000000004EC8: D8EC4480 6E00002E
	ds_read_b64 v[112:113], v46 offset:17664                   // 000000004ED0: D8EC4500 7000002E
	ds_read_b64 v[114:115], v46 offset:17792                   // 000000004ED8: D8EC4580 7200002E
	ds_read_b64 v[116:117], v46 offset:17920                   // 000000004EE0: D8EC4600 7400002E
	ds_read_b64 v[118:119], v46 offset:18048                   // 000000004EE8: D8EC4680 7600002E
	ds_read_b64 v[120:121], v46 offset:18176                   // 000000004EF0: D8EC4700 7800002E
	ds_read_b64 v[122:123], v46 offset:18304                   // 000000004EF8: D8EC4780 7A00002E
	ds_read_b64 v[124:125], v46 offset:18432                   // 000000004F00: D8EC4800 7C00002E
	ds_read_b64 v[126:127], v46 offset:18560                   // 000000004F08: D8EC4880 7E00002E
	s_waitcnt lgkmcnt(0)                                       // 000000004F10: BF8CC07F
	v_max3_f32 v20, |v96|, |v98|, v20                          // 000000004F14: D1D30314 0452C560
	v_max3_f32 v21, |v97|, |v99|, v21                          // 000000004F1C: D1D30315 0456C761
	v_max3_f32 v20, |v100|, |v102|, v20                        // 000000004F24: D1D30314 0452CD64
	v_max3_f32 v21, |v101|, |v103|, v21                        // 000000004F2C: D1D30315 0456CF65
	v_max3_f32 v20, |v104|, |v106|, v20                        // 000000004F34: D1D30314 0452D568
	v_max3_f32 v21, |v105|, |v107|, v21                        // 000000004F3C: D1D30315 0456D769
	v_max3_f32 v20, |v108|, |v110|, v20                        // 000000004F44: D1D30314 0452DD6C
	v_max3_f32 v21, |v109|, |v111|, v21                        // 000000004F4C: D1D30315 0456DF6D
	v_max3_f32 v20, |v112|, |v114|, v20                        // 000000004F54: D1D30314 0452E570
	v_max3_f32 v21, |v113|, |v115|, v21                        // 000000004F5C: D1D30315 0456E771
	v_max3_f32 v20, |v116|, |v118|, v20                        // 000000004F64: D1D30314 0452ED74
	v_max3_f32 v21, |v117|, |v119|, v21                        // 000000004F6C: D1D30315 0456EF75
	v_max3_f32 v20, |v120|, |v122|, v20                        // 000000004F74: D1D30314 0452F578
	v_max3_f32 v21, |v121|, |v123|, v21                        // 000000004F7C: D1D30315 0456F779
	v_max3_f32 v20, |v124|, |v126|, v20                        // 000000004F84: D1D30314 0452FD7C
	v_max3_f32 v21, |v125|, |v127|, v21                        // 000000004F8C: D1D30315 0456FF7D
	v_rcp_f32_e32 v20, v20                                     // 000000004F94: 7E284514
	v_rcp_f32_e32 v21, v21                                     // 000000004F98: 7E2A4515
	v_mov_b32_e32 v46, 0x43e00000                              // 000000004F9C: 7E5C02FF 43E00000
	v_mul_f32_e32 v20, v46, v20                                // 000000004FA4: 0A28292E
	v_mul_f32_e32 v21, v46, v21                                // 000000004FA8: 0A2A2B2E
	v_mul_f32_e32 v128, v20, v128                              // 000000004FAC: 0B010114
	v_mul_f32_e32 v129, v20, v129                              // 000000004FB0: 0B030314
	v_mul_f32_e32 v130, v20, v130                              // 000000004FB4: 0B050514
	v_mul_f32_e32 v131, v20, v131                              // 000000004FB8: 0B070714
	v_cvt_pk_fp8_f32 v128, v128, v129                          // 000000004FBC: D2A20080 00030380
	v_cvt_pk_fp8_f32 v128, v130, v131 op_sel:[0,0,1]           // 000000004FC4: D2A24080 00030782
	v_mul_f32_e32 v132, v21, v132                              // 000000004FCC: 0B090915
	v_mul_f32_e32 v133, v21, v133                              // 000000004FD0: 0B0B0B15
	v_mul_f32_e32 v134, v21, v134                              // 000000004FD4: 0B0D0D15
	v_mul_f32_e32 v135, v21, v135                              // 000000004FD8: 0B0F0F15
	v_cvt_pk_fp8_f32 v129, v132, v133                          // 000000004FDC: D2A20081 00030B84
	v_cvt_pk_fp8_f32 v129, v134, v135 op_sel:[0,0,1]           // 000000004FE4: D2A24081 00030F86
	v_mul_f32_e32 v136, v20, v136                              // 000000004FEC: 0B111114
	v_mul_f32_e32 v137, v20, v137                              // 000000004FF0: 0B131314
	v_mul_f32_e32 v138, v20, v138                              // 000000004FF4: 0B151514
	v_mul_f32_e32 v139, v20, v139                              // 000000004FF8: 0B171714
	v_cvt_pk_fp8_f32 v130, v136, v137                          // 000000004FFC: D2A20082 00031388
	v_cvt_pk_fp8_f32 v130, v138, v139 op_sel:[0,0,1]           // 000000005004: D2A24082 0003178A
	v_mul_f32_e32 v140, v21, v140                              // 00000000500C: 0B191915
	v_mul_f32_e32 v141, v21, v141                              // 000000005010: 0B1B1B15
	v_mul_f32_e32 v142, v21, v142                              // 000000005014: 0B1D1D15
	v_mul_f32_e32 v143, v21, v143                              // 000000005018: 0B1F1F15
	v_cvt_pk_fp8_f32 v131, v140, v141                          // 00000000501C: D2A20083 00031B8C
	v_cvt_pk_fp8_f32 v131, v142, v143 op_sel:[0,0,1]           // 000000005024: D2A24083 00031F8E
	v_mul_f32_e32 v144, v20, v144                              // 00000000502C: 0B212114
	v_mul_f32_e32 v145, v20, v145                              // 000000005030: 0B232314
	v_mul_f32_e32 v146, v20, v146                              // 000000005034: 0B252514
	v_mul_f32_e32 v147, v20, v147                              // 000000005038: 0B272714
	v_cvt_pk_fp8_f32 v132, v144, v145                          // 00000000503C: D2A20084 00032390
	v_cvt_pk_fp8_f32 v132, v146, v147 op_sel:[0,0,1]           // 000000005044: D2A24084 00032792
	v_mul_f32_e32 v148, v21, v148                              // 00000000504C: 0B292915
	v_mul_f32_e32 v149, v21, v149                              // 000000005050: 0B2B2B15
	v_mul_f32_e32 v150, v21, v150                              // 000000005054: 0B2D2D15
	v_mul_f32_e32 v151, v21, v151                              // 000000005058: 0B2F2F15
	v_cvt_pk_fp8_f32 v133, v148, v149                          // 00000000505C: D2A20085 00032B94
	v_cvt_pk_fp8_f32 v133, v150, v151 op_sel:[0,0,1]           // 000000005064: D2A24085 00032F96
	v_mul_f32_e32 v152, v20, v152                              // 00000000506C: 0B313114
	v_mul_f32_e32 v153, v20, v153                              // 000000005070: 0B333314
	v_mul_f32_e32 v154, v20, v154                              // 000000005074: 0B353514
	v_mul_f32_e32 v155, v20, v155                              // 000000005078: 0B373714
	v_cvt_pk_fp8_f32 v134, v152, v153                          // 00000000507C: D2A20086 00033398
	v_cvt_pk_fp8_f32 v134, v154, v155 op_sel:[0,0,1]           // 000000005084: D2A24086 0003379A
	v_mul_f32_e32 v156, v21, v156                              // 00000000508C: 0B393915
	v_mul_f32_e32 v157, v21, v157                              // 000000005090: 0B3B3B15
	v_mul_f32_e32 v158, v21, v158                              // 000000005094: 0B3D3D15
	v_mul_f32_e32 v159, v21, v159                              // 000000005098: 0B3F3F15
	v_cvt_pk_fp8_f32 v135, v156, v157                          // 00000000509C: D2A20087 00033B9C
	v_cvt_pk_fp8_f32 v135, v158, v159 op_sel:[0,0,1]           // 0000000050A4: D2A24087 00033F9E
	v_rcp_f32_e32 v22, v20                                     // 0000000050AC: 7E2C4514
	v_rcp_f32_e32 v23, v21                                     // 0000000050B0: 7E2E4515
	v_lshrrev_b32_e32 v46, 5, v0                               // 0000000050B4: 205C0085
	v_lshlrev_b32_e32 v47, 5, v46                              // 0000000050B8: 245E5C85
	v_and_b32_e32 v46, 31, v0                                  // 0000000050BC: 265C009F
	v_lshrrev_b32_e32 v48, 4, v46                              // 0000000050C0: 20605C84
	v_add_u32_e32 v47, v48, v47                                // 0000000050C4: 685E5F30
	v_and_b32_e32 v46, 15, v0                                  // 0000000050C8: 265C008F
	v_lshlrev_b32_e32 v46, 1, v46                              // 0000000050CC: 245C5C81
	v_add_u32_e32 v47, v46, v47                                // 0000000050D0: 685E5F2E
	v_lshlrev_b32_e32 v46, 2, v47                              // 0000000050D4: 245C5E82
	s_mul_i32 s60, 0x100, s7                                   // 0000000050D8: 923C07FF 00000100
	v_add_u32_e64 v46, v46, s60                                // 0000000050E0: D134002E 0000792E
	ds_write_b32 v46, v128 offset:18688                        // 0000000050E8: D81A4900 0000802E
	ds_write_b32 v46, v129 offset:22784                        // 0000000050F0: D81A5900 0000812E
	ds_write_b32 v46, v130 offset:19712                        // 0000000050F8: D81A4D00 0000822E
	ds_write_b32 v46, v131 offset:23808                        // 000000005100: D81A5D00 0000832E
	ds_write_b32 v46, v132 offset:20736                        // 000000005108: D81A5100 0000842E
	ds_write_b32 v46, v133 offset:24832                        // 000000005110: D81A6100 0000852E
	ds_write_b32 v46, v134 offset:21760                        // 000000005118: D81A5500 0000862E
	ds_write_b32 v46, v135 offset:25856                        // 000000005120: D81A6500 0000872E
	s_waitcnt lgkmcnt(0)                                       // 000000005128: BF8CC07F
	s_barrier                                                  // 00000000512C: BF8A0000
	v_lshrrev_b32_e32 v46, 4, v0                               // 000000005130: 205C0084
	v_lshlrev_b32_e32 v47, 6, v46                              // 000000005134: 245E5C86
	v_and_b32_e32 v46, 15, v0                                  // 000000005138: 265C008F
	v_lshlrev_b32_e32 v46, 1, v46                              // 00000000513C: 245C5C81
	v_add_u32_e32 v47, v46, v47                                // 000000005140: 685E5F2E
	v_lshlrev_b32_e32 v46, 2, v47                              // 000000005144: 245C5E82
	ds_read_b64 v[128:129], v46 offset:18688                   // 000000005148: D8EC4900 8000002E
	ds_read_b64 v[130:131], v46 offset:18816                   // 000000005150: D8EC4980 8200002E
	ds_read_b64 v[132:133], v46 offset:19712                   // 000000005158: D8EC4D00 8400002E
	ds_read_b64 v[134:135], v46 offset:19840                   // 000000005160: D8EC4D80 8600002E
	ds_read_b64 v[136:137], v46 offset:20736                   // 000000005168: D8EC5100 8800002E
	ds_read_b64 v[138:139], v46 offset:20864                   // 000000005170: D8EC5180 8A00002E
	ds_read_b64 v[140:141], v46 offset:21760                   // 000000005178: D8EC5500 8C00002E
	ds_read_b64 v[142:143], v46 offset:21888                   // 000000005180: D8EC5580 8E00002E
	ds_read_b64 v[144:145], v46 offset:22784                   // 000000005188: D8EC5900 9000002E
	ds_read_b64 v[146:147], v46 offset:22912                   // 000000005190: D8EC5980 9200002E
	ds_read_b64 v[148:149], v46 offset:23808                   // 000000005198: D8EC5D00 9400002E
	ds_read_b64 v[150:151], v46 offset:23936                   // 0000000051A0: D8EC5D80 9600002E
	ds_read_b64 v[152:153], v46 offset:24832                   // 0000000051A8: D8EC6100 9800002E
	ds_read_b64 v[154:155], v46 offset:24960                   // 0000000051B0: D8EC6180 9A00002E
	ds_read_b64 v[156:157], v46 offset:25856                   // 0000000051B8: D8EC6500 9C00002E
	ds_read_b64 v[158:159], v46 offset:25984                   // 0000000051C0: D8EC6580 9E00002E
	s_add_u32 s12, s56, s12                                    // 0000000051C8: 800C0C38
	s_addc_u32 s13, 0, s13                                     // 0000000051CC: 820D0D80
	s_add_u32 s16, s79, s16                                    // 0000000051D0: 8010104F
	s_addc_u32 s17, 0, s17                                     // 0000000051D4: 82111180
	s_waitcnt lgkmcnt(0)                                       // 0000000051D8: BF8CC07F
	s_barrier                                                  // 0000000051DC: BF8A0000
	v_mov_b32_e32 v160, 0                                      // 0000000051E0: 7F400280
	v_mov_b32_e32 v192, 0                                      // 0000000051E4: 7F800280
	v_mov_b32_e32 v161, 0                                      // 0000000051E8: 7F420280
	v_mov_b32_e32 v193, 0                                      // 0000000051EC: 7F820280
	v_mov_b32_e32 v162, 0                                      // 0000000051F0: 7F440280
	v_mov_b32_e32 v194, 0                                      // 0000000051F4: 7F840280
	v_mov_b32_e32 v163, 0                                      // 0000000051F8: 7F460280
	v_mov_b32_e32 v195, 0                                      // 0000000051FC: 7F860280
	v_mov_b32_e32 v164, 0                                      // 000000005200: 7F480280
	v_mov_b32_e32 v196, 0                                      // 000000005204: 7F880280
	v_mov_b32_e32 v165, 0                                      // 000000005208: 7F4A0280
	v_mov_b32_e32 v197, 0                                      // 00000000520C: 7F8A0280
	v_mov_b32_e32 v166, 0                                      // 000000005210: 7F4C0280
	v_mov_b32_e32 v198, 0                                      // 000000005214: 7F8C0280
	v_mov_b32_e32 v167, 0                                      // 000000005218: 7F4E0280
	v_mov_b32_e32 v199, 0                                      // 00000000521C: 7F8E0280
	v_mov_b32_e32 v168, 0                                      // 000000005220: 7F500280
	v_mov_b32_e32 v200, 0                                      // 000000005224: 7F900280
	v_mov_b32_e32 v169, 0                                      // 000000005228: 7F520280
	v_mov_b32_e32 v201, 0                                      // 00000000522C: 7F920280
	v_mov_b32_e32 v170, 0                                      // 000000005230: 7F540280
	v_mov_b32_e32 v202, 0                                      // 000000005234: 7F940280
	v_mov_b32_e32 v171, 0                                      // 000000005238: 7F560280
	v_mov_b32_e32 v203, 0                                      // 00000000523C: 7F960280
	v_mov_b32_e32 v172, 0                                      // 000000005240: 7F580280
	v_mov_b32_e32 v204, 0                                      // 000000005244: 7F980280
	v_mov_b32_e32 v173, 0                                      // 000000005248: 7F5A0280
	v_mov_b32_e32 v205, 0                                      // 00000000524C: 7F9A0280
	v_mov_b32_e32 v174, 0                                      // 000000005250: 7F5C0280
	v_mov_b32_e32 v206, 0                                      // 000000005254: 7F9C0280
	v_mov_b32_e32 v175, 0                                      // 000000005258: 7F5E0280
	v_mov_b32_e32 v207, 0                                      // 00000000525C: 7F9E0280
	ds_write_b64 v3, v[160:161] offset:18688                   // 000000005260: D89A4900 0000A003
	ds_write_b64 v3, v[162:163] offset:27392                   // 000000005268: D89A6B00 0000A203
	ds_write_b64 v3, v[164:165] offset:20864                   // 000000005270: D89A5180 0000A403
	ds_write_b64 v3, v[166:167] offset:29568                   // 000000005278: D89A7380 0000A603
	ds_write_b64 v3, v[168:169] offset:23040                   // 000000005280: D89A5A00 0000A803
	ds_write_b64 v3, v[170:171] offset:31744                   // 000000005288: D89A7C00 0000AA03
	ds_write_b64 v3, v[172:173] offset:25216                   // 000000005290: D89A6280 0000AC03
	ds_write_b64 v3, v[174:175] offset:33920                   // 000000005298: D89A8480 0000AE03
	s_mov_b32 s80, 0                                           // 0000000052A0: BED00080
	s_waitcnt vmcnt(0) expcnt(0) lgkmcnt(0)                    // 0000000052A4: BF8C0000

00000000000052a8 <label_092A>:
	s_waitcnt vmcnt(13) lgkmcnt(0)                             // 0000000052A8: BF8C007D
	s_barrier                                                  // 0000000052AC: BF8A0000
	v_mfma_f32_16x16x32_fp8_fp8 v[160:163], a[0:1], v[128:129], 0// 0000000052B0: D3F300A0 0A030100
	ds_read_b32 v64, v4 offset:18688                           // 0000000052B8: D86C4900 40000004
	ds_read_b32 v65, v4 offset:23040                           // 0000000052C0: D86C5A00 41000004
	v_mfma_f32_16x16x32_fp8_fp8 v[160:163], a[2:3], v[130:131], v[160:163]// 0000000052C8: D3F300A0 0E830502
	buffer_load_dwordx4 a[64:67], v36, s[12:15], 0 offen       // 0000000052D0: E05C1000 80834024
	v_mfma_f32_16x16x32_fp8_fp8 v[164:167], a[0:1], v[144:145], 0// 0000000052D8: D3F300A4 0A032100
	ds_read_b32 v66, v4 offset:18720                           // 0000000052E0: D86C4920 42000004
	ds_read_b32 v67, v4 offset:23072                           // 0000000052E8: D86C5A20 43000004
	v_mfma_f32_16x16x32_fp8_fp8 v[164:167], a[2:3], v[146:147], v[164:167]// 0000000052F0: D3F300A4 0E932502
	v_mfma_f32_16x16x32_fp8_fp8 v[168:171], a[4:5], v[128:129], 0// 0000000052F8: D3F300A8 0A030104
	ds_read_b32 v68, v4 offset:18752                           // 000000005300: D86C4940 44000004
	ds_read_b32 v69, v4 offset:23104                           // 000000005308: D86C5A40 45000004
	v_mfma_f32_16x16x32_fp8_fp8 v[168:171], a[6:7], v[130:131], v[168:171]// 000000005310: D3F300A8 0EA30506
	buffer_load_dwordx4 a[68:71], v37, s[12:15], 0 offen       // 000000005318: E05C1000 80834425
	v_mfma_f32_16x16x32_fp8_fp8 v[172:175], a[4:5], v[144:145], 0// 000000005320: D3F300AC 0A032104
	ds_read_b32 v70, v4 offset:18784                           // 000000005328: D86C4960 46000004
	ds_read_b32 v71, v4 offset:23136                           // 000000005330: D86C5A60 47000004
	v_mfma_f32_16x16x32_fp8_fp8 v[172:175], a[6:7], v[146:147], v[172:175]// 000000005338: D3F300AC 0EB32506
	v_mfma_f32_16x16x32_fp8_fp8 v[176:179], a[8:9], v[128:129], 0// 000000005340: D3F300B0 0A030108
	ds_read_b32 v72, v4 offset:27392                           // 000000005348: D86C6B00 48000004
	ds_read_b32 v73, v4 offset:31744                           // 000000005350: D86C7C00 49000004
	v_mfma_f32_16x16x32_fp8_fp8 v[176:179], a[10:11], v[130:131], v[176:179]// 000000005358: D3F300B0 0EC3050A
	buffer_load_dwordx4 a[72:75], v38, s[12:15], 0 offen       // 000000005360: E05C1000 80834826
	v_mfma_f32_16x16x32_fp8_fp8 v[180:183], a[8:9], v[144:145], 0// 000000005368: D3F300B4 0A032108
	ds_read_b32 v74, v4 offset:27424                           // 000000005370: D86C6B20 4A000004
	ds_read_b32 v75, v4 offset:31776                           // 000000005378: D86C7C20 4B000004
	v_mfma_f32_16x16x32_fp8_fp8 v[180:183], a[10:11], v[146:147], v[180:183]// 000000005380: D3F300B4 0ED3250A
	v_mfma_f32_16x16x32_fp8_fp8 v[184:187], a[12:13], v[128:129], 0// 000000005388: D3F300B8 0A03010C
	ds_read_b32 v76, v4 offset:27456                           // 000000005390: D86C6B40 4C000004
	ds_read_b32 v77, v4 offset:31808                           // 000000005398: D86C7C40 4D000004
	v_mfma_f32_16x16x32_fp8_fp8 v[184:187], a[14:15], v[130:131], v[184:187]// 0000000053A0: D3F300B8 0EE3050E
	buffer_load_dwordx4 a[76:79], v39, s[12:15], 0 offen       // 0000000053A8: E05C1000 80834C27
	s_add_u32 s12, s78, s12                                    // 0000000053B0: 800C0C4E
	s_addc_u32 s13, 0, s13                                     // 0000000053B4: 820D0D80
	v_mfma_f32_16x16x32_fp8_fp8 v[188:191], a[12:13], v[144:145], 0// 0000000053B8: D3F300BC 0A03210C
	ds_read_b32 v78, v4 offset:27488                           // 0000000053C0: D86C6B60 4E000004
	ds_read_b32 v79, v4 offset:31840                           // 0000000053C8: D86C7C60 4F000004
	v_mfma_f32_16x16x32_fp8_fp8 v[188:191], a[14:15], v[146:147], v[188:191]// 0000000053D0: D3F300BC 0EF3250E
	s_waitcnt vmcnt(13)                                        // 0000000053D8: BF8C0F7D
	v_mfma_f32_16x16x32_fp8_fp8 v[160:163], a[16:17], v[132:133], v[160:163]// 0000000053DC: D3F300A0 0E830910
	v_mfma_f32_16x16x32_fp8_fp8 v[160:163], a[18:19], v[134:135], v[160:163]// 0000000053E4: D3F300A0 0E830D12
	buffer_load_dwordx4 a[80:83], v36, s[12:15], 0 offen       // 0000000053EC: E05C1000 80835024
	v_mfma_f32_16x16x32_fp8_fp8 v[164:167], a[16:17], v[148:149], v[164:167]// 0000000053F4: D3F300A4 0E932910
	v_mfma_f32_16x16x32_fp8_fp8 v[164:167], a[18:19], v[150:151], v[164:167]// 0000000053FC: D3F300A4 0E932D12
	v_mfma_f32_16x16x32_fp8_fp8 v[168:171], a[20:21], v[132:133], v[168:171]// 000000005404: D3F300A8 0EA30914
	v_mfma_f32_16x16x32_fp8_fp8 v[168:171], a[22:23], v[134:135], v[168:171]// 00000000540C: D3F300A8 0EA30D16
	buffer_load_dwordx4 a[84:87], v37, s[12:15], 0 offen       // 000000005414: E05C1000 80835425
	v_mfma_f32_16x16x32_fp8_fp8 v[172:175], a[20:21], v[148:149], v[172:175]// 00000000541C: D3F300AC 0EB32914
	v_mfma_f32_16x16x32_fp8_fp8 v[172:175], a[22:23], v[150:151], v[172:175]// 000000005424: D3F300AC 0EB32D16
	v_mfma_f32_16x16x32_fp8_fp8 v[176:179], a[24:25], v[132:133], v[176:179]// 00000000542C: D3F300B0 0EC30918
	v_mfma_f32_16x16x32_fp8_fp8 v[176:179], a[26:27], v[134:135], v[176:179]// 000000005434: D3F300B0 0EC30D1A
	buffer_load_dwordx4 a[88:91], v38, s[12:15], 0 offen       // 00000000543C: E05C1000 80835826
	v_mfma_f32_16x16x32_fp8_fp8 v[180:183], a[24:25], v[148:149], v[180:183]// 000000005444: D3F300B4 0ED32918
	v_mfma_f32_16x16x32_fp8_fp8 v[180:183], a[26:27], v[150:151], v[180:183]// 00000000544C: D3F300B4 0ED32D1A
	v_mfma_f32_16x16x32_fp8_fp8 v[184:187], a[28:29], v[132:133], v[184:187]// 000000005454: D3F300B8 0EE3091C
	v_mfma_f32_16x16x32_fp8_fp8 v[184:187], a[30:31], v[134:135], v[184:187]// 00000000545C: D3F300B8 0EE30D1E
	buffer_load_dwordx4 a[92:95], v39, s[12:15], 0 offen       // 000000005464: E05C1000 80835C27
	s_add_u32 s12, s78, s12                                    // 00000000546C: 800C0C4E
	s_addc_u32 s13, 0, s13                                     // 000000005470: 820D0D80
	v_mfma_f32_16x16x32_fp8_fp8 v[188:191], a[28:29], v[148:149], v[188:191]// 000000005474: D3F300BC 0EF3291C
	v_mfma_f32_16x16x32_fp8_fp8 v[188:191], a[30:31], v[150:151], v[188:191]// 00000000547C: D3F300BC 0EF32D1E
	s_waitcnt vmcnt(13)                                        // 000000005484: BF8C0F7D
	v_mfma_f32_16x16x32_fp8_fp8 v[160:163], a[32:33], v[136:137], v[160:163]// 000000005488: D3F300A0 0E831120
	ds_write_b64 v3, v[192:193] offset:36096                   // 000000005490: D89A8D00 0000C003
	v_mfma_f32_16x16x32_fp8_fp8 v[160:163], a[34:35], v[138:139], v[160:163]// 000000005498: D3F300A0 0E831522
	buffer_load_dwordx4 a[96:99], v36, s[12:15], 0 offen       // 0000000054A0: E05C1000 80836024
	v_mfma_f32_16x16x32_fp8_fp8 v[164:167], a[32:33], v[152:153], v[164:167]// 0000000054A8: D3F300A4 0E933120
	ds_write_b64 v3, v[194:195] offset:44800                   // 0000000054B0: D89AAF00 0000C203
	v_mfma_f32_16x16x32_fp8_fp8 v[164:167], a[34:35], v[154:155], v[164:167]// 0000000054B8: D3F300A4 0E933522
	v_mfma_f32_16x16x32_fp8_fp8 v[168:171], a[36:37], v[136:137], v[168:171]// 0000000054C0: D3F300A8 0EA31124
	ds_write_b64 v3, v[196:197] offset:38272                   // 0000000054C8: D89A9580 0000C403
	v_mfma_f32_16x16x32_fp8_fp8 v[168:171], a[38:39], v[138:139], v[168:171]// 0000000054D0: D3F300A8 0EA31526
	buffer_load_dwordx4 a[100:103], v37, s[12:15], 0 offen     // 0000000054D8: E05C1000 80836425
	v_mfma_f32_16x16x32_fp8_fp8 v[172:175], a[36:37], v[152:153], v[172:175]// 0000000054E0: D3F300AC 0EB33124
	ds_write_b64 v3, v[198:199] offset:46976                   // 0000000054E8: D89AB780 0000C603
	v_mfma_f32_16x16x32_fp8_fp8 v[172:175], a[38:39], v[154:155], v[172:175]// 0000000054F0: D3F300AC 0EB33526
	v_mfma_f32_16x16x32_fp8_fp8 v[176:179], a[40:41], v[136:137], v[176:179]// 0000000054F8: D3F300B0 0EC31128
	ds_write_b64 v3, v[200:201] offset:40448                   // 000000005500: D89A9E00 0000C803
	v_mfma_f32_16x16x32_fp8_fp8 v[176:179], a[42:43], v[138:139], v[176:179]// 000000005508: D3F300B0 0EC3152A
	buffer_load_dwordx4 a[104:107], v38, s[12:15], 0 offen     // 000000005510: E05C1000 80836826
	v_mfma_f32_16x16x32_fp8_fp8 v[180:183], a[40:41], v[152:153], v[180:183]// 000000005518: D3F300B4 0ED33128
	ds_write_b64 v3, v[202:203] offset:49152                   // 000000005520: D89AC000 0000CA03
	v_mfma_f32_16x16x32_fp8_fp8 v[180:183], a[42:43], v[154:155], v[180:183]// 000000005528: D3F300B4 0ED3352A
	v_mfma_f32_16x16x32_fp8_fp8 v[184:187], a[44:45], v[136:137], v[184:187]// 000000005530: D3F300B8 0EE3112C
	ds_write_b64 v3, v[204:205] offset:42624                   // 000000005538: D89AA680 0000CC03
	v_mfma_f32_16x16x32_fp8_fp8 v[184:187], a[46:47], v[138:139], v[184:187]// 000000005540: D3F300B8 0EE3152E
	buffer_load_dwordx4 a[108:111], v39, s[12:15], 0 offen     // 000000005548: E05C1000 80836C27
	s_add_u32 s12, s78, s12                                    // 000000005550: 800C0C4E
	s_addc_u32 s13, 0, s13                                     // 000000005554: 820D0D80
	v_mfma_f32_16x16x32_fp8_fp8 v[188:191], a[44:45], v[152:153], v[188:191]// 000000005558: D3F300BC 0EF3312C
	ds_write_b64 v3, v[206:207] offset:51328                   // 000000005560: D89AC880 0000CE03
	v_mfma_f32_16x16x32_fp8_fp8 v[188:191], a[46:47], v[154:155], v[188:191]// 000000005568: D3F300BC 0EF3352E
	s_waitcnt vmcnt(12)                                        // 000000005570: BF8C0F7C
	v_mfma_f32_16x16x32_fp8_fp8 v[160:163], a[48:49], v[140:141], v[160:163]// 000000005574: D3F300A0 0E831930
	v_mfma_f32_16x16x32_fp8_fp8 v[160:163], a[50:51], v[142:143], v[160:163]// 00000000557C: D3F300A0 0E831D32
	buffer_load_dwordx4 a[112:115], v36, s[12:15], 0 offen     // 000000005584: E05C1000 80837024
	v_mfma_f32_16x16x32_fp8_fp8 v[164:167], a[48:49], v[156:157], v[164:167]// 00000000558C: D3F300A4 0E933930
	v_mfma_f32_16x16x32_fp8_fp8 v[164:167], a[50:51], v[158:159], v[164:167]// 000000005594: D3F300A4 0E933D32
	buffer_load_dword v12, v5, s[16:19], 0 offen               // 00000000559C: E0501000 80040C05
	v_mfma_f32_16x16x32_fp8_fp8 v[168:171], a[52:53], v[140:141], v[168:171]// 0000000055A4: D3F300A8 0EA31934
	v_mfma_f32_16x16x32_fp8_fp8 v[168:171], a[54:55], v[142:143], v[168:171]// 0000000055AC: D3F300A8 0EA31D36
	buffer_load_dwordx4 a[116:119], v37, s[12:15], 0 offen     // 0000000055B4: E05C1000 80837425
	v_mfma_f32_16x16x32_fp8_fp8 v[172:175], a[52:53], v[156:157], v[172:175]// 0000000055BC: D3F300AC 0EB33934
	v_mfma_f32_16x16x32_fp8_fp8 v[172:175], a[54:55], v[158:159], v[172:175]// 0000000055C4: D3F300AC 0EB33D36
	v_mfma_f32_16x16x32_fp8_fp8 v[176:179], a[56:57], v[140:141], v[176:179]// 0000000055CC: D3F300B0 0EC31938
	v_mfma_f32_16x16x32_fp8_fp8 v[176:179], a[58:59], v[142:143], v[176:179]// 0000000055D4: D3F300B0 0EC31D3A
	buffer_load_dwordx4 a[120:123], v38, s[12:15], 0 offen     // 0000000055DC: E05C1000 80837826
	v_mfma_f32_16x16x32_fp8_fp8 v[180:183], a[56:57], v[156:157], v[180:183]// 0000000055E4: D3F300B4 0ED33938
	v_mfma_f32_16x16x32_fp8_fp8 v[180:183], a[58:59], v[158:159], v[180:183]// 0000000055EC: D3F300B4 0ED33D3A
	v_mfma_f32_16x16x32_fp8_fp8 v[184:187], a[60:61], v[140:141], v[184:187]// 0000000055F4: D3F300B8 0EE3193C
	v_mfma_f32_16x16x32_fp8_fp8 v[184:187], a[62:63], v[142:143], v[184:187]// 0000000055FC: D3F300B8 0EE31D3E
	buffer_load_dwordx4 a[124:127], v39, s[12:15], 0 offen     // 000000005604: E05C1000 80837C27
	v_mfma_f32_16x16x32_fp8_fp8 v[188:191], a[60:61], v[156:157], v[188:191]// 00000000560C: D3F300BC 0EF3393C
	v_mfma_f32_16x16x32_fp8_fp8 v[188:191], a[62:63], v[158:159], v[188:191]// 000000005614: D3F300BC 0EF33D3E
	s_add_u32 s60, 0x200, s80                                  // 00000000561C: 803C50FF 00000200
	s_cmp_lt_u32 s60, s81                                      // 000000005624: BF0A513C
	s_cselect_b32 s56, s56, 0                                  // 000000005628: 85388038
	s_cselect_b32 s78, s78, 0                                  // 00000000562C: 854E804E
	s_cselect_b32 s79, s79, 0                                  // 000000005630: 854F804F
	s_add_u32 s12, s56, s12                                    // 000000005634: 800C0C38
	s_addc_u32 s13, 0, s13                                     // 000000005638: 820D0D80
	s_add_u32 s16, s79, s16                                    // 00000000563C: 8010104F
	s_addc_u32 s17, 0, s17                                     // 000000005640: 82111180
	v_mul_f32_e32 v160, v22, v160                              // 000000005644: 0B414116
	v_mul_f32_e32 v161, v22, v161                              // 000000005648: 0B434316
	v_mul_f32_e32 v162, v22, v162                              // 00000000564C: 0B454516
	v_mul_f32_e32 v163, v22, v163                              // 000000005650: 0B474716
	v_mul_f32_dpp v160, v11, v160 row_newbcast:0 row_mask:0xf bank_mask:0xf// 000000005654: 0B4140FA FF01500B
	v_mul_f32_dpp v161, v11, v161 row_newbcast:1 row_mask:0xf bank_mask:0xf// 00000000565C: 0B4342FA FF01510B
	v_mul_f32_dpp v162, v11, v162 row_newbcast:2 row_mask:0xf bank_mask:0xf// 000000005664: 0B4544FA FF01520B
	v_mul_f32_dpp v163, v11, v163 row_newbcast:3 row_mask:0xf bank_mask:0xf// 00000000566C: 0B4746FA FF01530B
	v_mul_f32_e32 v160, v17, v160                              // 000000005674: 0B414111
	v_mul_f32_e32 v161, v17, v161                              // 000000005678: 0B434311
	v_mul_f32_e32 v162, v17, v162                              // 00000000567C: 0B454511
	v_mul_f32_e32 v163, v17, v163                              // 000000005680: 0B474711
	v_mul_f32_e32 v164, v23, v164                              // 000000005684: 0B494917
	v_mul_f32_e32 v165, v23, v165                              // 000000005688: 0B4B4B17
	v_mul_f32_e32 v166, v23, v166                              // 00000000568C: 0B4D4D17
	v_mul_f32_e32 v167, v23, v167                              // 000000005690: 0B4F4F17
	v_mul_f32_dpp v164, v11, v164 row_newbcast:0 row_mask:0xf bank_mask:0xf// 000000005694: 0B4948FA FF01500B
	v_mul_f32_dpp v165, v11, v165 row_newbcast:1 row_mask:0xf bank_mask:0xf// 00000000569C: 0B4B4AFA FF01510B
	v_mul_f32_dpp v166, v11, v166 row_newbcast:2 row_mask:0xf bank_mask:0xf// 0000000056A4: 0B4D4CFA FF01520B
	v_mul_f32_dpp v167, v11, v167 row_newbcast:3 row_mask:0xf bank_mask:0xf// 0000000056AC: 0B4F4EFA FF01530B
	v_mul_f32_e32 v164, v18, v164                              // 0000000056B4: 0B494912
	v_mul_f32_e32 v165, v18, v165                              // 0000000056B8: 0B4B4B12
	v_mul_f32_e32 v166, v18, v166                              // 0000000056BC: 0B4D4D12
	v_mul_f32_e32 v167, v18, v167                              // 0000000056C0: 0B4F4F12
	v_mul_f32_e32 v168, v22, v168                              // 0000000056C4: 0B515116
	v_mul_f32_e32 v169, v22, v169                              // 0000000056C8: 0B535316
	v_mul_f32_e32 v170, v22, v170                              // 0000000056CC: 0B555516
	v_mul_f32_e32 v171, v22, v171                              // 0000000056D0: 0B575716
	v_mul_f32_dpp v168, v11, v168 row_newbcast:4 row_mask:0xf bank_mask:0xf// 0000000056D4: 0B5150FA FF01540B
	v_mul_f32_dpp v169, v11, v169 row_newbcast:5 row_mask:0xf bank_mask:0xf// 0000000056DC: 0B5352FA FF01550B
	v_mul_f32_dpp v170, v11, v170 row_newbcast:6 row_mask:0xf bank_mask:0xf// 0000000056E4: 0B5554FA FF01560B
	v_mul_f32_dpp v171, v11, v171 row_newbcast:7 row_mask:0xf bank_mask:0xf// 0000000056EC: 0B5756FA FF01570B
	v_mul_f32_e32 v168, v17, v168                              // 0000000056F4: 0B515111
	v_mul_f32_e32 v169, v17, v169                              // 0000000056F8: 0B535311
	v_mul_f32_e32 v170, v17, v170                              // 0000000056FC: 0B555511
	v_mul_f32_e32 v171, v17, v171                              // 000000005700: 0B575711
	v_mul_f32_e32 v172, v23, v172                              // 000000005704: 0B595917
	v_mul_f32_e32 v173, v23, v173                              // 000000005708: 0B5B5B17
	v_mul_f32_e32 v174, v23, v174                              // 00000000570C: 0B5D5D17
	v_mul_f32_e32 v175, v23, v175                              // 000000005710: 0B5F5F17
	v_mul_f32_dpp v172, v11, v172 row_newbcast:4 row_mask:0xf bank_mask:0xf// 000000005714: 0B5958FA FF01540B
	v_mul_f32_dpp v173, v11, v173 row_newbcast:5 row_mask:0xf bank_mask:0xf// 00000000571C: 0B5B5AFA FF01550B
	v_mul_f32_dpp v174, v11, v174 row_newbcast:6 row_mask:0xf bank_mask:0xf// 000000005724: 0B5D5CFA FF01560B
	v_mul_f32_dpp v175, v11, v175 row_newbcast:7 row_mask:0xf bank_mask:0xf// 00000000572C: 0B5F5EFA FF01570B
	v_mul_f32_e32 v172, v18, v172                              // 000000005734: 0B595912
	v_mul_f32_e32 v173, v18, v173                              // 000000005738: 0B5B5B12
	v_mul_f32_e32 v174, v18, v174                              // 00000000573C: 0B5D5D12
	v_mul_f32_e32 v175, v18, v175                              // 000000005740: 0B5F5F12
	v_mul_f32_e32 v176, v22, v176                              // 000000005744: 0B616116
	v_mul_f32_e32 v177, v22, v177                              // 000000005748: 0B636316
	v_mul_f32_e32 v178, v22, v178                              // 00000000574C: 0B656516
	v_mul_f32_e32 v179, v22, v179                              // 000000005750: 0B676716
	v_mul_f32_dpp v176, v11, v176 row_newbcast:8 row_mask:0xf bank_mask:0xf// 000000005754: 0B6160FA FF01580B
	v_mul_f32_dpp v177, v11, v177 row_newbcast:9 row_mask:0xf bank_mask:0xf// 00000000575C: 0B6362FA FF01590B
	v_mul_f32_dpp v178, v11, v178 row_newbcast:10 row_mask:0xf bank_mask:0xf// 000000005764: 0B6564FA FF015A0B
	v_mul_f32_dpp v179, v11, v179 row_newbcast:11 row_mask:0xf bank_mask:0xf// 00000000576C: 0B6766FA FF015B0B
	v_mul_f32_e32 v176, v17, v176                              // 000000005774: 0B616111
	v_mul_f32_e32 v177, v17, v177                              // 000000005778: 0B636311
	v_mul_f32_e32 v178, v17, v178                              // 00000000577C: 0B656511
	v_mul_f32_e32 v179, v17, v179                              // 000000005780: 0B676711
	v_mul_f32_e32 v180, v23, v180                              // 000000005784: 0B696917
	v_mul_f32_e32 v181, v23, v181                              // 000000005788: 0B6B6B17
	v_mul_f32_e32 v182, v23, v182                              // 00000000578C: 0B6D6D17
	v_mul_f32_e32 v183, v23, v183                              // 000000005790: 0B6F6F17
	v_mul_f32_dpp v180, v11, v180 row_newbcast:8 row_mask:0xf bank_mask:0xf// 000000005794: 0B6968FA FF01580B
	v_mul_f32_dpp v181, v11, v181 row_newbcast:9 row_mask:0xf bank_mask:0xf// 00000000579C: 0B6B6AFA FF01590B
	v_mul_f32_dpp v182, v11, v182 row_newbcast:10 row_mask:0xf bank_mask:0xf// 0000000057A4: 0B6D6CFA FF015A0B
	v_mul_f32_dpp v183, v11, v183 row_newbcast:11 row_mask:0xf bank_mask:0xf// 0000000057AC: 0B6F6EFA FF015B0B
	v_mul_f32_e32 v180, v18, v180                              // 0000000057B4: 0B696912
	v_mul_f32_e32 v181, v18, v181                              // 0000000057B8: 0B6B6B12
	v_mul_f32_e32 v182, v18, v182                              // 0000000057BC: 0B6D6D12
	v_mul_f32_e32 v183, v18, v183                              // 0000000057C0: 0B6F6F12
	v_mul_f32_e32 v184, v22, v184                              // 0000000057C4: 0B717116
	v_mul_f32_e32 v185, v22, v185                              // 0000000057C8: 0B737316
	v_mul_f32_e32 v186, v22, v186                              // 0000000057CC: 0B757516
	v_mul_f32_e32 v187, v22, v187                              // 0000000057D0: 0B777716
	v_mul_f32_dpp v184, v11, v184 row_newbcast:12 row_mask:0xf bank_mask:0xf// 0000000057D4: 0B7170FA FF015C0B
	v_mul_f32_dpp v185, v11, v185 row_newbcast:13 row_mask:0xf bank_mask:0xf// 0000000057DC: 0B7372FA FF015D0B
	v_mul_f32_dpp v186, v11, v186 row_newbcast:14 row_mask:0xf bank_mask:0xf// 0000000057E4: 0B7574FA FF015E0B
	v_mul_f32_dpp v187, v11, v187 row_newbcast:15 row_mask:0xf bank_mask:0xf// 0000000057EC: 0B7776FA FF015F0B
	v_mul_f32_e32 v184, v17, v184                              // 0000000057F4: 0B717111
	v_mul_f32_e32 v185, v17, v185                              // 0000000057F8: 0B737311
	v_mul_f32_e32 v186, v17, v186                              // 0000000057FC: 0B757511
	v_mul_f32_e32 v187, v17, v187                              // 000000005800: 0B777711
	v_mul_f32_e32 v188, v23, v188                              // 000000005804: 0B797917
	v_mul_f32_e32 v189, v23, v189                              // 000000005808: 0B7B7B17
	v_mul_f32_e32 v190, v23, v190                              // 00000000580C: 0B7D7D17
	v_mul_f32_e32 v191, v23, v191                              // 000000005810: 0B7F7F17
	v_mul_f32_dpp v188, v11, v188 row_newbcast:12 row_mask:0xf bank_mask:0xf// 000000005814: 0B7978FA FF015C0B
	v_mul_f32_dpp v189, v11, v189 row_newbcast:13 row_mask:0xf bank_mask:0xf// 00000000581C: 0B7B7AFA FF015D0B
	v_mul_f32_dpp v190, v11, v190 row_newbcast:14 row_mask:0xf bank_mask:0xf// 000000005824: 0B7D7CFA FF015E0B
	v_mul_f32_dpp v191, v11, v191 row_newbcast:15 row_mask:0xf bank_mask:0xf// 00000000582C: 0B7F7EFA FF015F0B
	v_mul_f32_e32 v188, v18, v188                              // 000000005834: 0B797912
	v_mul_f32_e32 v189, v18, v189                              // 000000005838: 0B7B7B12
	v_mul_f32_e32 v190, v18, v190                              // 00000000583C: 0B7D7D12
	v_mul_f32_e32 v191, v18, v191                              // 000000005840: 0B7F7F12
	v_cvt_pkrtz_f16_f32 v160, v160, v161                       // 000000005844: D29600A0 000343A0
	v_cvt_pkrtz_f16_f32 v161, v162, v163                       // 00000000584C: D29600A1 000347A2
	v_cvt_pkrtz_f16_f32 v162, v164, v165                       // 000000005854: D29600A2 00034BA4
	v_cvt_pkrtz_f16_f32 v163, v166, v167                       // 00000000585C: D29600A3 00034FA6
	v_cvt_pkrtz_f16_f32 v164, v168, v169                       // 000000005864: D29600A4 000353A8
	v_cvt_pkrtz_f16_f32 v165, v170, v171                       // 00000000586C: D29600A5 000357AA
	v_cvt_pkrtz_f16_f32 v166, v172, v173                       // 000000005874: D29600A6 00035BAC
	v_cvt_pkrtz_f16_f32 v167, v174, v175                       // 00000000587C: D29600A7 00035FAE
	v_cvt_pkrtz_f16_f32 v168, v176, v177                       // 000000005884: D29600A8 000363B0
	v_cvt_pkrtz_f16_f32 v169, v178, v179                       // 00000000588C: D29600A9 000367B2
	v_cvt_pkrtz_f16_f32 v170, v180, v181                       // 000000005894: D29600AA 00036BB4
	v_cvt_pkrtz_f16_f32 v171, v182, v183                       // 00000000589C: D29600AB 00036FB6
	v_cvt_pkrtz_f16_f32 v172, v184, v185                       // 0000000058A4: D29600AC 000373B8
	v_cvt_pkrtz_f16_f32 v173, v186, v187                       // 0000000058AC: D29600AD 000377BA
	v_cvt_pkrtz_f16_f32 v174, v188, v189                       // 0000000058B4: D29600AE 00037BBC
	v_cvt_pkrtz_f16_f32 v175, v190, v191                       // 0000000058BC: D29600AF 00037FBE
	s_cmp_ge_u32 s80, 0x200                                    // 0000000058C4: BF09FF50 00000200
	s_cselect_b32 s59, 0x200, s59                              // 0000000058CC: 853B3BFF 00000200
	s_setvskip s20, 0                                          // 0000000058D4: BF108014
	global_atomic_pk_add_f16 v80, v64, s[8:9]                  // 0000000058D8: DD388000 00084050
	s_setvskip 0, 0                                            // 0000000058E0: BF108080
	s_setvskip s20, 0                                          // 0000000058E4: BF108014
	global_atomic_pk_add_f16 v80, v65, s[8:9] offset:256       // 0000000058E8: DD388100 00084150
	s_setvskip 0, 0                                            // 0000000058F0: BF108080
	s_setvskip s20, 1                                          // 0000000058F4: BF108114
	global_atomic_pk_add_f16 v82, v66, s[8:9]                  // 0000000058F8: DD388000 00084252
	s_setvskip 0, 0                                            // 000000005900: BF108080
	s_setvskip s20, 1                                          // 000000005904: BF108114
	global_atomic_pk_add_f16 v82, v67, s[8:9] offset:256       // 000000005908: DD388100 00084352
	s_setvskip 0, 0                                            // 000000005910: BF108080
	s_setvskip s20, 2                                          // 000000005914: BF108214
	global_atomic_pk_add_f16 v84, v68, s[8:9]                  // 000000005918: DD388000 00084454
	s_setvskip 0, 0                                            // 000000005920: BF108080
	s_setvskip s20, 2                                          // 000000005924: BF108214
	global_atomic_pk_add_f16 v84, v69, s[8:9] offset:256       // 000000005928: DD388100 00084554
	s_setvskip 0, 0                                            // 000000005930: BF108080
	s_setvskip s20, 3                                          // 000000005934: BF108314
	global_atomic_pk_add_f16 v86, v70, s[8:9]                  // 000000005938: DD388000 00084656
	s_setvskip 0, 0                                            // 000000005940: BF108080
	s_setvskip s20, 3                                          // 000000005944: BF108314
	global_atomic_pk_add_f16 v86, v71, s[8:9] offset:256       // 000000005948: DD388100 00084756
	s_setvskip 0, 0                                            // 000000005950: BF108080
	s_setvskip s20, 4                                          // 000000005954: BF108414
	global_atomic_pk_add_f16 v88, v72, s[8:9]                  // 000000005958: DD388000 00084858
	s_setvskip 0, 0                                            // 000000005960: BF108080
	s_setvskip s20, 4                                          // 000000005964: BF108414
	global_atomic_pk_add_f16 v88, v73, s[8:9] offset:256       // 000000005968: DD388100 00084958
	s_setvskip 0, 0                                            // 000000005970: BF108080
	s_setvskip s20, 5                                          // 000000005974: BF108514
	global_atomic_pk_add_f16 v90, v74, s[8:9]                  // 000000005978: DD388000 00084A5A
	s_setvskip 0, 0                                            // 000000005980: BF108080
	s_setvskip s20, 5                                          // 000000005984: BF108514
	global_atomic_pk_add_f16 v90, v75, s[8:9] offset:256       // 000000005988: DD388100 00084B5A
	s_setvskip 0, 0                                            // 000000005990: BF108080
	s_setvskip s20, 6                                          // 000000005994: BF108614
	global_atomic_pk_add_f16 v92, v76, s[8:9]                  // 000000005998: DD388000 00084C5C
	s_setvskip 0, 0                                            // 0000000059A0: BF108080
	s_setvskip s20, 6                                          // 0000000059A4: BF108614
	global_atomic_pk_add_f16 v92, v77, s[8:9] offset:256       // 0000000059A8: DD388100 00084D5C
	s_setvskip 0, 0                                            // 0000000059B0: BF108080
	s_setvskip s20, 7                                          // 0000000059B4: BF108714
	global_atomic_pk_add_f16 v94, v78, s[8:9]                  // 0000000059B8: DD388000 00084E5E
	s_setvskip 0, 0                                            // 0000000059C0: BF108080
	s_setvskip s20, 7                                          // 0000000059C4: BF108714
	global_atomic_pk_add_f16 v94, v79, s[8:9] offset:256       // 0000000059C8: DD388100 00084F5E
	s_setvskip 0, 0                                            // 0000000059D0: BF108080
	s_add_u32 s8, s59, s8                                      // 0000000059D4: 8008083B
	s_addc_u32 s9, 0, s9                                       // 0000000059D8: 82090980
	s_addk_i32 s80, 0x100                                      // 0000000059DC: B7500100
	s_cmp_lt_i32 s80, s81                                      // 0000000059E0: BF045150
	s_cbranch_scc0 label_0CCB                                  // 0000000059E4: BF8401D1
	s_waitcnt vmcnt(13) lgkmcnt(0)                             // 0000000059E8: BF8C007D
	s_barrier                                                  // 0000000059EC: BF8A0000
	v_mfma_f32_16x16x32_fp8_fp8 v[192:195], a[64:65], v[128:129], 0// 0000000059F0: D3F300C0 0A030140
	ds_read_b32 v64, v4 offset:36096                           // 0000000059F8: D86C8D00 40000004
	ds_read_b32 v65, v4 offset:40448                           // 000000005A00: D86C9E00 41000004
	v_mfma_f32_16x16x32_fp8_fp8 v[192:195], a[66:67], v[130:131], v[192:195]// 000000005A08: D3F300C0 0F030542
	buffer_load_dwordx4 a[0:3], v36, s[12:15], 0 offen         // 000000005A10: E05C1000 80830024
	v_mfma_f32_16x16x32_fp8_fp8 v[196:199], a[64:65], v[144:145], 0// 000000005A18: D3F300C4 0A032140
	ds_read_b32 v66, v4 offset:36128                           // 000000005A20: D86C8D20 42000004
	ds_read_b32 v67, v4 offset:40480                           // 000000005A28: D86C9E20 43000004
	v_mfma_f32_16x16x32_fp8_fp8 v[196:199], a[66:67], v[146:147], v[196:199]// 000000005A30: D3F300C4 0F132542
	v_mfma_f32_16x16x32_fp8_fp8 v[200:203], a[68:69], v[128:129], 0// 000000005A38: D3F300C8 0A030144
	ds_read_b32 v68, v4 offset:36160                           // 000000005A40: D86C8D40 44000004
	ds_read_b32 v69, v4 offset:40512                           // 000000005A48: D86C9E40 45000004
	v_mfma_f32_16x16x32_fp8_fp8 v[200:203], a[70:71], v[130:131], v[200:203]// 000000005A50: D3F300C8 0F230546
	buffer_load_dwordx4 a[4:7], v37, s[12:15], 0 offen         // 000000005A58: E05C1000 80830425
	v_mfma_f32_16x16x32_fp8_fp8 v[204:207], a[68:69], v[144:145], 0// 000000005A60: D3F300CC 0A032144
	ds_read_b32 v70, v4 offset:36192                           // 000000005A68: D86C8D60 46000004
	ds_read_b32 v71, v4 offset:40544                           // 000000005A70: D86C9E60 47000004
	v_mfma_f32_16x16x32_fp8_fp8 v[204:207], a[70:71], v[146:147], v[204:207]// 000000005A78: D3F300CC 0F332546
	v_mfma_f32_16x16x32_fp8_fp8 v[208:211], a[72:73], v[128:129], 0// 000000005A80: D3F300D0 0A030148
	ds_read_b32 v72, v4 offset:44800                           // 000000005A88: D86CAF00 48000004
	ds_read_b32 v73, v4 offset:49152                           // 000000005A90: D86CC000 49000004
	v_mfma_f32_16x16x32_fp8_fp8 v[208:211], a[74:75], v[130:131], v[208:211]// 000000005A98: D3F300D0 0F43054A
	buffer_load_dwordx4 a[8:11], v38, s[12:15], 0 offen        // 000000005AA0: E05C1000 80830826
	v_mfma_f32_16x16x32_fp8_fp8 v[212:215], a[72:73], v[144:145], 0// 000000005AA8: D3F300D4 0A032148
	ds_read_b32 v74, v4 offset:44832                           // 000000005AB0: D86CAF20 4A000004
	ds_read_b32 v75, v4 offset:49184                           // 000000005AB8: D86CC020 4B000004
	v_mfma_f32_16x16x32_fp8_fp8 v[212:215], a[74:75], v[146:147], v[212:215]// 000000005AC0: D3F300D4 0F53254A
	v_mfma_f32_16x16x32_fp8_fp8 v[216:219], a[76:77], v[128:129], 0// 000000005AC8: D3F300D8 0A03014C
	ds_read_b32 v76, v4 offset:44864                           // 000000005AD0: D86CAF40 4C000004
	ds_read_b32 v77, v4 offset:49216                           // 000000005AD8: D86CC040 4D000004
	v_mfma_f32_16x16x32_fp8_fp8 v[216:219], a[78:79], v[130:131], v[216:219]// 000000005AE0: D3F300D8 0F63054E
	buffer_load_dwordx4 a[12:15], v39, s[12:15], 0 offen       // 000000005AE8: E05C1000 80830C27
	s_add_u32 s12, s78, s12                                    // 000000005AF0: 800C0C4E
	s_addc_u32 s13, 0, s13                                     // 000000005AF4: 820D0D80
	v_mfma_f32_16x16x32_fp8_fp8 v[220:223], a[76:77], v[144:145], 0// 000000005AF8: D3F300DC 0A03214C
	ds_read_b32 v78, v4 offset:44896                           // 000000005B00: D86CAF60 4E000004
	ds_read_b32 v79, v4 offset:49248                           // 000000005B08: D86CC060 4F000004
	v_mfma_f32_16x16x32_fp8_fp8 v[220:223], a[78:79], v[146:147], v[220:223]// 000000005B10: D3F300DC 0F73254E
	s_waitcnt vmcnt(13)                                        // 000000005B18: BF8C0F7D
	v_mfma_f32_16x16x32_fp8_fp8 v[192:195], a[80:81], v[132:133], v[192:195]// 000000005B1C: D3F300C0 0F030950
	v_mfma_f32_16x16x32_fp8_fp8 v[192:195], a[82:83], v[134:135], v[192:195]// 000000005B24: D3F300C0 0F030D52
	buffer_load_dwordx4 a[16:19], v36, s[12:15], 0 offen       // 000000005B2C: E05C1000 80831024
	v_mfma_f32_16x16x32_fp8_fp8 v[196:199], a[80:81], v[148:149], v[196:199]// 000000005B34: D3F300C4 0F132950
	v_mfma_f32_16x16x32_fp8_fp8 v[196:199], a[82:83], v[150:151], v[196:199]// 000000005B3C: D3F300C4 0F132D52
	v_mfma_f32_16x16x32_fp8_fp8 v[200:203], a[84:85], v[132:133], v[200:203]// 000000005B44: D3F300C8 0F230954
	v_mfma_f32_16x16x32_fp8_fp8 v[200:203], a[86:87], v[134:135], v[200:203]// 000000005B4C: D3F300C8 0F230D56
	buffer_load_dwordx4 a[20:23], v37, s[12:15], 0 offen       // 000000005B54: E05C1000 80831425
	v_mfma_f32_16x16x32_fp8_fp8 v[204:207], a[84:85], v[148:149], v[204:207]// 000000005B5C: D3F300CC 0F332954
	v_mfma_f32_16x16x32_fp8_fp8 v[204:207], a[86:87], v[150:151], v[204:207]// 000000005B64: D3F300CC 0F332D56
	v_mfma_f32_16x16x32_fp8_fp8 v[208:211], a[88:89], v[132:133], v[208:211]// 000000005B6C: D3F300D0 0F430958
	v_mfma_f32_16x16x32_fp8_fp8 v[208:211], a[90:91], v[134:135], v[208:211]// 000000005B74: D3F300D0 0F430D5A
	buffer_load_dwordx4 a[24:27], v38, s[12:15], 0 offen       // 000000005B7C: E05C1000 80831826
	v_mfma_f32_16x16x32_fp8_fp8 v[212:215], a[88:89], v[148:149], v[212:215]// 000000005B84: D3F300D4 0F532958
	v_mfma_f32_16x16x32_fp8_fp8 v[212:215], a[90:91], v[150:151], v[212:215]// 000000005B8C: D3F300D4 0F532D5A
	v_mfma_f32_16x16x32_fp8_fp8 v[216:219], a[92:93], v[132:133], v[216:219]// 000000005B94: D3F300D8 0F63095C
	v_mfma_f32_16x16x32_fp8_fp8 v[216:219], a[94:95], v[134:135], v[216:219]// 000000005B9C: D3F300D8 0F630D5E
	buffer_load_dwordx4 a[28:31], v39, s[12:15], 0 offen       // 000000005BA4: E05C1000 80831C27
	s_add_u32 s12, s78, s12                                    // 000000005BAC: 800C0C4E
	s_addc_u32 s13, 0, s13                                     // 000000005BB0: 820D0D80
	v_mfma_f32_16x16x32_fp8_fp8 v[220:223], a[92:93], v[148:149], v[220:223]// 000000005BB4: D3F300DC 0F73295C
	v_mfma_f32_16x16x32_fp8_fp8 v[220:223], a[94:95], v[150:151], v[220:223]// 000000005BBC: D3F300DC 0F732D5E
	s_waitcnt vmcnt(13)                                        // 000000005BC4: BF8C0F7D
	v_mfma_f32_16x16x32_fp8_fp8 v[192:195], a[96:97], v[136:137], v[192:195]// 000000005BC8: D3F300C0 0F031160
	ds_write_b64 v3, v[160:161] offset:18688                   // 000000005BD0: D89A4900 0000A003
	v_mfma_f32_16x16x32_fp8_fp8 v[192:195], a[98:99], v[138:139], v[192:195]// 000000005BD8: D3F300C0 0F031562
	buffer_load_dwordx4 a[32:35], v36, s[12:15], 0 offen       // 000000005BE0: E05C1000 80832024
	v_mfma_f32_16x16x32_fp8_fp8 v[196:199], a[96:97], v[152:153], v[196:199]// 000000005BE8: D3F300C4 0F133160
	ds_write_b64 v3, v[162:163] offset:27392                   // 000000005BF0: D89A6B00 0000A203
	v_mfma_f32_16x16x32_fp8_fp8 v[196:199], a[98:99], v[154:155], v[196:199]// 000000005BF8: D3F300C4 0F133562
	v_mfma_f32_16x16x32_fp8_fp8 v[200:203], a[100:101], v[136:137], v[200:203]// 000000005C00: D3F300C8 0F231164
	ds_write_b64 v3, v[164:165] offset:20864                   // 000000005C08: D89A5180 0000A403
	v_mfma_f32_16x16x32_fp8_fp8 v[200:203], a[102:103], v[138:139], v[200:203]// 000000005C10: D3F300C8 0F231566
	buffer_load_dwordx4 a[36:39], v37, s[12:15], 0 offen       // 000000005C18: E05C1000 80832425
	v_mfma_f32_16x16x32_fp8_fp8 v[204:207], a[100:101], v[152:153], v[204:207]// 000000005C20: D3F300CC 0F333164
	ds_write_b64 v3, v[166:167] offset:29568                   // 000000005C28: D89A7380 0000A603
	v_mfma_f32_16x16x32_fp8_fp8 v[204:207], a[102:103], v[154:155], v[204:207]// 000000005C30: D3F300CC 0F333566
	v_mfma_f32_16x16x32_fp8_fp8 v[208:211], a[104:105], v[136:137], v[208:211]// 000000005C38: D3F300D0 0F431168
	ds_write_b64 v3, v[168:169] offset:23040                   // 000000005C40: D89A5A00 0000A803
	v_mfma_f32_16x16x32_fp8_fp8 v[208:211], a[106:107], v[138:139], v[208:211]// 000000005C48: D3F300D0 0F43156A
	buffer_load_dwordx4 a[40:43], v38, s[12:15], 0 offen       // 000000005C50: E05C1000 80832826
	v_mfma_f32_16x16x32_fp8_fp8 v[212:215], a[104:105], v[152:153], v[212:215]// 000000005C58: D3F300D4 0F533168
	ds_write_b64 v3, v[170:171] offset:31744                   // 000000005C60: D89A7C00 0000AA03
	v_mfma_f32_16x16x32_fp8_fp8 v[212:215], a[106:107], v[154:155], v[212:215]// 000000005C68: D3F300D4 0F53356A
	v_mfma_f32_16x16x32_fp8_fp8 v[216:219], a[108:109], v[136:137], v[216:219]// 000000005C70: D3F300D8 0F63116C
	ds_write_b64 v3, v[172:173] offset:25216                   // 000000005C78: D89A6280 0000AC03
	v_mfma_f32_16x16x32_fp8_fp8 v[216:219], a[110:111], v[138:139], v[216:219]// 000000005C80: D3F300D8 0F63156E
	buffer_load_dwordx4 a[44:47], v39, s[12:15], 0 offen       // 000000005C88: E05C1000 80832C27
	s_add_u32 s12, s78, s12                                    // 000000005C90: 800C0C4E
	s_addc_u32 s13, 0, s13                                     // 000000005C94: 820D0D80
	v_mfma_f32_16x16x32_fp8_fp8 v[220:223], a[108:109], v[152:153], v[220:223]// 000000005C98: D3F300DC 0F73316C
	ds_write_b64 v3, v[174:175] offset:33920                   // 000000005CA0: D89A8480 0000AE03
	v_mfma_f32_16x16x32_fp8_fp8 v[220:223], a[110:111], v[154:155], v[220:223]// 000000005CA8: D3F300DC 0F73356E
	s_waitcnt vmcnt(12)                                        // 000000005CB0: BF8C0F7C
	v_mfma_f32_16x16x32_fp8_fp8 v[192:195], a[112:113], v[140:141], v[192:195]// 000000005CB4: D3F300C0 0F031970
	v_mfma_f32_16x16x32_fp8_fp8 v[192:195], a[114:115], v[142:143], v[192:195]// 000000005CBC: D3F300C0 0F031D72
	buffer_load_dwordx4 a[48:51], v36, s[12:15], 0 offen       // 000000005CC4: E05C1000 80833024
	v_mfma_f32_16x16x32_fp8_fp8 v[196:199], a[112:113], v[156:157], v[196:199]// 000000005CCC: D3F300C4 0F133970
	v_mfma_f32_16x16x32_fp8_fp8 v[196:199], a[114:115], v[158:159], v[196:199]// 000000005CD4: D3F300C4 0F133D72
	buffer_load_dword v11, v5, s[16:19], 0 offen               // 000000005CDC: E0501000 80040B05
	v_mfma_f32_16x16x32_fp8_fp8 v[200:203], a[116:117], v[140:141], v[200:203]// 000000005CE4: D3F300C8 0F231974
	v_mfma_f32_16x16x32_fp8_fp8 v[200:203], a[118:119], v[142:143], v[200:203]// 000000005CEC: D3F300C8 0F231D76
	buffer_load_dwordx4 a[52:55], v37, s[12:15], 0 offen       // 000000005CF4: E05C1000 80833425
	v_mfma_f32_16x16x32_fp8_fp8 v[204:207], a[116:117], v[156:157], v[204:207]// 000000005CFC: D3F300CC 0F333974
	v_mfma_f32_16x16x32_fp8_fp8 v[204:207], a[118:119], v[158:159], v[204:207]// 000000005D04: D3F300CC 0F333D76
	v_mfma_f32_16x16x32_fp8_fp8 v[208:211], a[120:121], v[140:141], v[208:211]// 000000005D0C: D3F300D0 0F431978
	v_mfma_f32_16x16x32_fp8_fp8 v[208:211], a[122:123], v[142:143], v[208:211]// 000000005D14: D3F300D0 0F431D7A
	buffer_load_dwordx4 a[56:59], v38, s[12:15], 0 offen       // 000000005D1C: E05C1000 80833826
	v_mfma_f32_16x16x32_fp8_fp8 v[212:215], a[120:121], v[156:157], v[212:215]// 000000005D24: D3F300D4 0F533978
	v_mfma_f32_16x16x32_fp8_fp8 v[212:215], a[122:123], v[158:159], v[212:215]// 000000005D2C: D3F300D4 0F533D7A
	v_mfma_f32_16x16x32_fp8_fp8 v[216:219], a[124:125], v[140:141], v[216:219]// 000000005D34: D3F300D8 0F63197C
	v_mfma_f32_16x16x32_fp8_fp8 v[216:219], a[126:127], v[142:143], v[216:219]// 000000005D3C: D3F300D8 0F631D7E
	buffer_load_dwordx4 a[60:63], v39, s[12:15], 0 offen       // 000000005D44: E05C1000 80833C27
	v_mfma_f32_16x16x32_fp8_fp8 v[220:223], a[124:125], v[156:157], v[220:223]// 000000005D4C: D3F300DC 0F73397C
	v_mfma_f32_16x16x32_fp8_fp8 v[220:223], a[126:127], v[158:159], v[220:223]// 000000005D54: D3F300DC 0F733D7E
	s_add_u32 s60, 0x200, s80                                  // 000000005D5C: 803C50FF 00000200
	s_cmp_lt_u32 s60, s81                                      // 000000005D64: BF0A513C
	s_cselect_b32 s56, s56, 0                                  // 000000005D68: 85388038
	s_cselect_b32 s78, s78, 0                                  // 000000005D6C: 854E804E
	s_cselect_b32 s79, s79, 0                                  // 000000005D70: 854F804F
	s_add_u32 s12, s56, s12                                    // 000000005D74: 800C0C38
	s_addc_u32 s13, 0, s13                                     // 000000005D78: 820D0D80
	s_add_u32 s16, s79, s16                                    // 000000005D7C: 8010104F
	s_addc_u32 s17, 0, s17                                     // 000000005D80: 82111180
	v_mul_f32_e32 v192, v22, v192                              // 000000005D84: 0B818116
	v_mul_f32_e32 v193, v22, v193                              // 000000005D88: 0B838316
	v_mul_f32_e32 v194, v22, v194                              // 000000005D8C: 0B858516
	v_mul_f32_e32 v195, v22, v195                              // 000000005D90: 0B878716
	v_mul_f32_dpp v192, v12, v192 row_newbcast:0 row_mask:0xf bank_mask:0xf// 000000005D94: 0B8180FA FF01500C
	v_mul_f32_dpp v193, v12, v193 row_newbcast:1 row_mask:0xf bank_mask:0xf// 000000005D9C: 0B8382FA FF01510C
	v_mul_f32_dpp v194, v12, v194 row_newbcast:2 row_mask:0xf bank_mask:0xf// 000000005DA4: 0B8584FA FF01520C
	v_mul_f32_dpp v195, v12, v195 row_newbcast:3 row_mask:0xf bank_mask:0xf// 000000005DAC: 0B8786FA FF01530C
	v_mul_f32_e32 v192, v17, v192                              // 000000005DB4: 0B818111
	v_mul_f32_e32 v193, v17, v193                              // 000000005DB8: 0B838311
	v_mul_f32_e32 v194, v17, v194                              // 000000005DBC: 0B858511
	v_mul_f32_e32 v195, v17, v195                              // 000000005DC0: 0B878711
	v_mul_f32_e32 v196, v23, v196                              // 000000005DC4: 0B898917
	v_mul_f32_e32 v197, v23, v197                              // 000000005DC8: 0B8B8B17
	v_mul_f32_e32 v198, v23, v198                              // 000000005DCC: 0B8D8D17
	v_mul_f32_e32 v199, v23, v199                              // 000000005DD0: 0B8F8F17
	v_mul_f32_dpp v196, v12, v196 row_newbcast:0 row_mask:0xf bank_mask:0xf// 000000005DD4: 0B8988FA FF01500C
	v_mul_f32_dpp v197, v12, v197 row_newbcast:1 row_mask:0xf bank_mask:0xf// 000000005DDC: 0B8B8AFA FF01510C
	v_mul_f32_dpp v198, v12, v198 row_newbcast:2 row_mask:0xf bank_mask:0xf// 000000005DE4: 0B8D8CFA FF01520C
	v_mul_f32_dpp v199, v12, v199 row_newbcast:3 row_mask:0xf bank_mask:0xf// 000000005DEC: 0B8F8EFA FF01530C
	v_mul_f32_e32 v196, v18, v196                              // 000000005DF4: 0B898912
	v_mul_f32_e32 v197, v18, v197                              // 000000005DF8: 0B8B8B12
	v_mul_f32_e32 v198, v18, v198                              // 000000005DFC: 0B8D8D12
	v_mul_f32_e32 v199, v18, v199                              // 000000005E00: 0B8F8F12
	v_mul_f32_e32 v200, v22, v200                              // 000000005E04: 0B919116
	v_mul_f32_e32 v201, v22, v201                              // 000000005E08: 0B939316
	v_mul_f32_e32 v202, v22, v202                              // 000000005E0C: 0B959516
	v_mul_f32_e32 v203, v22, v203                              // 000000005E10: 0B979716
	v_mul_f32_dpp v200, v12, v200 row_newbcast:4 row_mask:0xf bank_mask:0xf// 000000005E14: 0B9190FA FF01540C
	v_mul_f32_dpp v201, v12, v201 row_newbcast:5 row_mask:0xf bank_mask:0xf// 000000005E1C: 0B9392FA FF01550C
	v_mul_f32_dpp v202, v12, v202 row_newbcast:6 row_mask:0xf bank_mask:0xf// 000000005E24: 0B9594FA FF01560C
	v_mul_f32_dpp v203, v12, v203 row_newbcast:7 row_mask:0xf bank_mask:0xf// 000000005E2C: 0B9796FA FF01570C
	v_mul_f32_e32 v200, v17, v200                              // 000000005E34: 0B919111
	v_mul_f32_e32 v201, v17, v201                              // 000000005E38: 0B939311
	v_mul_f32_e32 v202, v17, v202                              // 000000005E3C: 0B959511
	v_mul_f32_e32 v203, v17, v203                              // 000000005E40: 0B979711
	v_mul_f32_e32 v204, v23, v204                              // 000000005E44: 0B999917
	v_mul_f32_e32 v205, v23, v205                              // 000000005E48: 0B9B9B17
	v_mul_f32_e32 v206, v23, v206                              // 000000005E4C: 0B9D9D17
	v_mul_f32_e32 v207, v23, v207                              // 000000005E50: 0B9F9F17
	v_mul_f32_dpp v204, v12, v204 row_newbcast:4 row_mask:0xf bank_mask:0xf// 000000005E54: 0B9998FA FF01540C
	v_mul_f32_dpp v205, v12, v205 row_newbcast:5 row_mask:0xf bank_mask:0xf// 000000005E5C: 0B9B9AFA FF01550C
	v_mul_f32_dpp v206, v12, v206 row_newbcast:6 row_mask:0xf bank_mask:0xf// 000000005E64: 0B9D9CFA FF01560C
	v_mul_f32_dpp v207, v12, v207 row_newbcast:7 row_mask:0xf bank_mask:0xf// 000000005E6C: 0B9F9EFA FF01570C
	v_mul_f32_e32 v204, v18, v204                              // 000000005E74: 0B999912
	v_mul_f32_e32 v205, v18, v205                              // 000000005E78: 0B9B9B12
	v_mul_f32_e32 v206, v18, v206                              // 000000005E7C: 0B9D9D12
	v_mul_f32_e32 v207, v18, v207                              // 000000005E80: 0B9F9F12
	v_mul_f32_e32 v208, v22, v208                              // 000000005E84: 0BA1A116
	v_mul_f32_e32 v209, v22, v209                              // 000000005E88: 0BA3A316
	v_mul_f32_e32 v210, v22, v210                              // 000000005E8C: 0BA5A516
	v_mul_f32_e32 v211, v22, v211                              // 000000005E90: 0BA7A716
	v_mul_f32_dpp v208, v12, v208 row_newbcast:8 row_mask:0xf bank_mask:0xf// 000000005E94: 0BA1A0FA FF01580C
	v_mul_f32_dpp v209, v12, v209 row_newbcast:9 row_mask:0xf bank_mask:0xf// 000000005E9C: 0BA3A2FA FF01590C
	v_mul_f32_dpp v210, v12, v210 row_newbcast:10 row_mask:0xf bank_mask:0xf// 000000005EA4: 0BA5A4FA FF015A0C
	v_mul_f32_dpp v211, v12, v211 row_newbcast:11 row_mask:0xf bank_mask:0xf// 000000005EAC: 0BA7A6FA FF015B0C
	v_mul_f32_e32 v208, v17, v208                              // 000000005EB4: 0BA1A111
	v_mul_f32_e32 v209, v17, v209                              // 000000005EB8: 0BA3A311
	v_mul_f32_e32 v210, v17, v210                              // 000000005EBC: 0BA5A511
	v_mul_f32_e32 v211, v17, v211                              // 000000005EC0: 0BA7A711
	v_mul_f32_e32 v212, v23, v212                              // 000000005EC4: 0BA9A917
	v_mul_f32_e32 v213, v23, v213                              // 000000005EC8: 0BABAB17
	v_mul_f32_e32 v214, v23, v214                              // 000000005ECC: 0BADAD17
	v_mul_f32_e32 v215, v23, v215                              // 000000005ED0: 0BAFAF17
	v_mul_f32_dpp v212, v12, v212 row_newbcast:8 row_mask:0xf bank_mask:0xf// 000000005ED4: 0BA9A8FA FF01580C
	v_mul_f32_dpp v213, v12, v213 row_newbcast:9 row_mask:0xf bank_mask:0xf// 000000005EDC: 0BABAAFA FF01590C
	v_mul_f32_dpp v214, v12, v214 row_newbcast:10 row_mask:0xf bank_mask:0xf// 000000005EE4: 0BADACFA FF015A0C
	v_mul_f32_dpp v215, v12, v215 row_newbcast:11 row_mask:0xf bank_mask:0xf// 000000005EEC: 0BAFAEFA FF015B0C
	v_mul_f32_e32 v212, v18, v212                              // 000000005EF4: 0BA9A912
	v_mul_f32_e32 v213, v18, v213                              // 000000005EF8: 0BABAB12
	v_mul_f32_e32 v214, v18, v214                              // 000000005EFC: 0BADAD12
	v_mul_f32_e32 v215, v18, v215                              // 000000005F00: 0BAFAF12
	v_mul_f32_e32 v216, v22, v216                              // 000000005F04: 0BB1B116
	v_mul_f32_e32 v217, v22, v217                              // 000000005F08: 0BB3B316
	v_mul_f32_e32 v218, v22, v218                              // 000000005F0C: 0BB5B516
	v_mul_f32_e32 v219, v22, v219                              // 000000005F10: 0BB7B716
	v_mul_f32_dpp v216, v12, v216 row_newbcast:12 row_mask:0xf bank_mask:0xf// 000000005F14: 0BB1B0FA FF015C0C
	v_mul_f32_dpp v217, v12, v217 row_newbcast:13 row_mask:0xf bank_mask:0xf// 000000005F1C: 0BB3B2FA FF015D0C
	v_mul_f32_dpp v218, v12, v218 row_newbcast:14 row_mask:0xf bank_mask:0xf// 000000005F24: 0BB5B4FA FF015E0C
	v_mul_f32_dpp v219, v12, v219 row_newbcast:15 row_mask:0xf bank_mask:0xf// 000000005F2C: 0BB7B6FA FF015F0C
	v_mul_f32_e32 v216, v17, v216                              // 000000005F34: 0BB1B111
	v_mul_f32_e32 v217, v17, v217                              // 000000005F38: 0BB3B311
	v_mul_f32_e32 v218, v17, v218                              // 000000005F3C: 0BB5B511
	v_mul_f32_e32 v219, v17, v219                              // 000000005F40: 0BB7B711
	v_mul_f32_e32 v220, v23, v220                              // 000000005F44: 0BB9B917
	v_mul_f32_e32 v221, v23, v221                              // 000000005F48: 0BBBBB17
	v_mul_f32_e32 v222, v23, v222                              // 000000005F4C: 0BBDBD17
	v_mul_f32_e32 v223, v23, v223                              // 000000005F50: 0BBFBF17
	v_mul_f32_dpp v220, v12, v220 row_newbcast:12 row_mask:0xf bank_mask:0xf// 000000005F54: 0BB9B8FA FF015C0C
	v_mul_f32_dpp v221, v12, v221 row_newbcast:13 row_mask:0xf bank_mask:0xf// 000000005F5C: 0BBBBAFA FF015D0C
	v_mul_f32_dpp v222, v12, v222 row_newbcast:14 row_mask:0xf bank_mask:0xf// 000000005F64: 0BBDBCFA FF015E0C
	v_mul_f32_dpp v223, v12, v223 row_newbcast:15 row_mask:0xf bank_mask:0xf// 000000005F6C: 0BBFBEFA FF015F0C
	v_mul_f32_e32 v220, v18, v220                              // 000000005F74: 0BB9B912
	v_mul_f32_e32 v221, v18, v221                              // 000000005F78: 0BBBBB12
	v_mul_f32_e32 v222, v18, v222                              // 000000005F7C: 0BBDBD12
	v_mul_f32_e32 v223, v18, v223                              // 000000005F80: 0BBFBF12
	v_cvt_pkrtz_f16_f32 v192, v192, v193                       // 000000005F84: D29600C0 000383C0
	v_cvt_pkrtz_f16_f32 v193, v194, v195                       // 000000005F8C: D29600C1 000387C2
	v_cvt_pkrtz_f16_f32 v194, v196, v197                       // 000000005F94: D29600C2 00038BC4
	v_cvt_pkrtz_f16_f32 v195, v198, v199                       // 000000005F9C: D29600C3 00038FC6
	v_cvt_pkrtz_f16_f32 v196, v200, v201                       // 000000005FA4: D29600C4 000393C8
	v_cvt_pkrtz_f16_f32 v197, v202, v203                       // 000000005FAC: D29600C5 000397CA
	v_cvt_pkrtz_f16_f32 v198, v204, v205                       // 000000005FB4: D29600C6 00039BCC
	v_cvt_pkrtz_f16_f32 v199, v206, v207                       // 000000005FBC: D29600C7 00039FCE
	v_cvt_pkrtz_f16_f32 v200, v208, v209                       // 000000005FC4: D29600C8 0003A3D0
	v_cvt_pkrtz_f16_f32 v201, v210, v211                       // 000000005FCC: D29600C9 0003A7D2
	v_cvt_pkrtz_f16_f32 v202, v212, v213                       // 000000005FD4: D29600CA 0003ABD4
	v_cvt_pkrtz_f16_f32 v203, v214, v215                       // 000000005FDC: D29600CB 0003AFD6
	v_cvt_pkrtz_f16_f32 v204, v216, v217                       // 000000005FE4: D29600CC 0003B3D8
	v_cvt_pkrtz_f16_f32 v205, v218, v219                       // 000000005FEC: D29600CD 0003B7DA
	v_cvt_pkrtz_f16_f32 v206, v220, v221                       // 000000005FF4: D29600CE 0003BBDC
	v_cvt_pkrtz_f16_f32 v207, v222, v223                       // 000000005FFC: D29600CF 0003BFDE
	s_cmp_ge_u32 s80, 0x200                                    // 000000006004: BF09FF50 00000200
	s_cselect_b32 s59, 0x200, s59                              // 00000000600C: 853B3BFF 00000200
	s_setvskip s20, 0                                          // 000000006014: BF108014
	global_atomic_pk_add_f16 v80, v64, s[8:9]                  // 000000006018: DD388000 00084050
	s_setvskip 0, 0                                            // 000000006020: BF108080
	s_setvskip s20, 0                                          // 000000006024: BF108014
	global_atomic_pk_add_f16 v80, v65, s[8:9] offset:256       // 000000006028: DD388100 00084150
	s_setvskip 0, 0                                            // 000000006030: BF108080
	s_setvskip s20, 1                                          // 000000006034: BF108114
	global_atomic_pk_add_f16 v82, v66, s[8:9]                  // 000000006038: DD388000 00084252
	s_setvskip 0, 0                                            // 000000006040: BF108080
	s_setvskip s20, 1                                          // 000000006044: BF108114
	global_atomic_pk_add_f16 v82, v67, s[8:9] offset:256       // 000000006048: DD388100 00084352
	s_setvskip 0, 0                                            // 000000006050: BF108080
	s_setvskip s20, 2                                          // 000000006054: BF108214
	global_atomic_pk_add_f16 v84, v68, s[8:9]                  // 000000006058: DD388000 00084454
	s_setvskip 0, 0                                            // 000000006060: BF108080
	s_setvskip s20, 2                                          // 000000006064: BF108214
	global_atomic_pk_add_f16 v84, v69, s[8:9] offset:256       // 000000006068: DD388100 00084554
	s_setvskip 0, 0                                            // 000000006070: BF108080
	s_setvskip s20, 3                                          // 000000006074: BF108314
	global_atomic_pk_add_f16 v86, v70, s[8:9]                  // 000000006078: DD388000 00084656
	s_setvskip 0, 0                                            // 000000006080: BF108080
	s_setvskip s20, 3                                          // 000000006084: BF108314
	global_atomic_pk_add_f16 v86, v71, s[8:9] offset:256       // 000000006088: DD388100 00084756
	s_setvskip 0, 0                                            // 000000006090: BF108080
	s_setvskip s20, 4                                          // 000000006094: BF108414
	global_atomic_pk_add_f16 v88, v72, s[8:9]                  // 000000006098: DD388000 00084858
	s_setvskip 0, 0                                            // 0000000060A0: BF108080
	s_setvskip s20, 4                                          // 0000000060A4: BF108414
	global_atomic_pk_add_f16 v88, v73, s[8:9] offset:256       // 0000000060A8: DD388100 00084958
	s_setvskip 0, 0                                            // 0000000060B0: BF108080
	s_setvskip s20, 5                                          // 0000000060B4: BF108514
	global_atomic_pk_add_f16 v90, v74, s[8:9]                  // 0000000060B8: DD388000 00084A5A
	s_setvskip 0, 0                                            // 0000000060C0: BF108080
	s_setvskip s20, 5                                          // 0000000060C4: BF108514
	global_atomic_pk_add_f16 v90, v75, s[8:9] offset:256       // 0000000060C8: DD388100 00084B5A
	s_setvskip 0, 0                                            // 0000000060D0: BF108080
	s_setvskip s20, 6                                          // 0000000060D4: BF108614
	global_atomic_pk_add_f16 v92, v76, s[8:9]                  // 0000000060D8: DD388000 00084C5C
	s_setvskip 0, 0                                            // 0000000060E0: BF108080
	s_setvskip s20, 6                                          // 0000000060E4: BF108614
	global_atomic_pk_add_f16 v92, v77, s[8:9] offset:256       // 0000000060E8: DD388100 00084D5C
	s_setvskip 0, 0                                            // 0000000060F0: BF108080
	s_setvskip s20, 7                                          // 0000000060F4: BF108714
	global_atomic_pk_add_f16 v94, v78, s[8:9]                  // 0000000060F8: DD388000 00084E5E
	s_setvskip 0, 0                                            // 000000006100: BF108080
	s_setvskip s20, 7                                          // 000000006104: BF108714
	global_atomic_pk_add_f16 v94, v79, s[8:9] offset:256       // 000000006108: DD388100 00084F5E
	s_setvskip 0, 0                                            // 000000006110: BF108080
	s_add_u32 s8, s59, s8                                      // 000000006114: 8008083B
	s_addc_u32 s9, 0, s9                                       // 000000006118: 82090980
	s_addk_i32 s80, 0x100                                      // 00000000611C: B7500100
	s_cmp_lt_i32 s80, s81                                      // 000000006120: BF045150
	s_cbranch_scc0 label_0CCB                                  // 000000006124: BF840001
	s_branch label_092A                                        // 000000006128: BF82FC5F

000000000000612c <label_0CCB>:
	s_nop 0                                                    // 00000000612C: BF800000
	s_nop 0                                                    // 000000006130: BF800000
	s_branch label_175A                                        // 000000006134: BF820A8C

0000000000006138 <label_0CCE>:
	s_waitcnt vmcnt(8) lgkmcnt(0)                              // 000000006138: BF8C0078
	s_barrier                                                  // 00000000613C: BF8A0000
	v_mfma_f32_16x16x32_fp8_fp8 v[128:131], a[0:1], v[160:161], v[128:131]// 000000006140: D3F30080 0E034100
	buffer_load_dwordx4 a[64:67], v32, s[92:95], 0 offen       // 000000006148: E05C1000 80974020
	v_mfma_f32_16x16x32_fp8_fp8 v[128:131], a[2:3], v[162:163], v[128:131]// 000000006150: D3F30080 0E034502
	v_mfma_f32_16x16x32_fp8_fp8 v[128:131], a[4:5], v[164:165], v[128:131]// 000000006158: D3F30080 0E034904
	buffer_load_dword v24, s[20:23], 0 offen lds               // 000000006160: E0511000 80050018
	s_add_u32 m0, 0x100, s51                                   // 000000006168: 807C33FF 00000100
	v_mfma_f32_16x16x32_fp8_fp8 v[128:131], a[6:7], v[166:167], v[128:131]// 000000006170: D3F30080 0E034D06
	v_mfma_f32_16x16x32_fp8_fp8 v[128:131], a[8:9], v[168:169], v[128:131]// 000000006178: D3F30080 0E035108
	buffer_load_dwordx4 a[68:71], v32, s[92:95], 0 offen offset:1024// 000000006180: E05C1400 80974420
	v_mfma_f32_16x16x32_fp8_fp8 v[128:131], a[10:11], v[170:171], v[128:131]// 000000006188: D3F30080 0E03550A
	v_mfma_f32_16x16x32_fp8_fp8 v[128:131], a[12:13], v[172:173], v[128:131]// 000000006190: D3F30080 0E03590C
	buffer_load_dword v25, s[20:23], 0 offen lds               // 000000006198: E0511000 80050019
	s_add_u32 m0, 0x200, s51                                   // 0000000061A0: 807C33FF 00000200
	v_mfma_f32_16x16x32_fp8_fp8 v[128:131], a[14:15], v[174:175], v[128:131]// 0000000061A8: D3F30080 0E035D0E
	v_mfma_f32_16x16x32_fp8_fp8 v[132:135], a[0:1], v[176:177], v[132:135]// 0000000061B0: D3F30084 0E136100
	buffer_load_dwordx4 a[72:75], v32, s[92:95], 0 offen offset:2048// 0000000061B8: E05C1800 80974820
	v_mfma_f32_16x16x32_fp8_fp8 v[132:135], a[2:3], v[178:179], v[132:135]// 0000000061C0: D3F30084 0E136502
	v_mfma_f32_16x16x32_fp8_fp8 v[132:135], a[4:5], v[180:181], v[132:135]// 0000000061C8: D3F30084 0E136904
	buffer_load_dword v26, s[20:23], 0 offen lds               // 0000000061D0: E0511000 8005001A
	s_add_u32 m0, 0x300, s51                                   // 0000000061D8: 807C33FF 00000300
	v_mfma_f32_16x16x32_fp8_fp8 v[132:135], a[6:7], v[182:183], v[132:135]// 0000000061E0: D3F30084 0E136D06
	v_mfma_f32_16x16x32_fp8_fp8 v[132:135], a[8:9], v[184:185], v[132:135]// 0000000061E8: D3F30084 0E137108
	buffer_load_dwordx4 a[76:79], v32, s[92:95], 0 offen offset:3072// 0000000061F0: E05C1C00 80974C20
	v_mfma_f32_16x16x32_fp8_fp8 v[132:135], a[10:11], v[186:187], v[132:135]// 0000000061F8: D3F30084 0E13750A
	v_mfma_f32_16x16x32_fp8_fp8 v[132:135], a[12:13], v[188:189], v[132:135]// 000000006200: D3F30084 0E13790C
	buffer_load_dword v27, s[20:23], 0 offen lds               // 000000006208: E0511000 8005001B
	s_add_u32 m0, 0x400, s51                                   // 000000006210: 807C33FF 00000400
	v_mfma_f32_16x16x32_fp8_fp8 v[132:135], a[14:15], v[190:191], v[132:135]// 000000006218: D3F30084 0E137D0E
	v_mfma_f32_16x16x32_fp8_fp8 v[136:139], a[16:17], v[160:161], v[136:139]// 000000006220: D3F30088 0E234110
	buffer_load_dwordx4 a[80:83], v33, s[92:95], 0 offen       // 000000006228: E05C1000 80975021
	v_mfma_f32_16x16x32_fp8_fp8 v[136:139], a[18:19], v[162:163], v[136:139]// 000000006230: D3F30088 0E234512
	v_mfma_f32_16x16x32_fp8_fp8 v[136:139], a[20:21], v[164:165], v[136:139]// 000000006238: D3F30088 0E234914
	buffer_load_dword v28, s[20:23], 0 offen lds               // 000000006240: E0511000 8005001C
	s_add_u32 m0, 0x500, s51                                   // 000000006248: 807C33FF 00000500
	v_mfma_f32_16x16x32_fp8_fp8 v[136:139], a[22:23], v[166:167], v[136:139]// 000000006250: D3F30088 0E234D16
	v_mfma_f32_16x16x32_fp8_fp8 v[136:139], a[24:25], v[168:169], v[136:139]// 000000006258: D3F30088 0E235118
	buffer_load_dwordx4 a[84:87], v33, s[92:95], 0 offen offset:1024// 000000006260: E05C1400 80975421
	v_mfma_f32_16x16x32_fp8_fp8 v[136:139], a[26:27], v[170:171], v[136:139]// 000000006268: D3F30088 0E23551A
	v_mfma_f32_16x16x32_fp8_fp8 v[136:139], a[28:29], v[172:173], v[136:139]// 000000006270: D3F30088 0E23591C
	buffer_load_dword v29, s[20:23], 0 offen lds               // 000000006278: E0511000 8005001D
	s_add_u32 m0, 0x600, s51                                   // 000000006280: 807C33FF 00000600
	v_mfma_f32_16x16x32_fp8_fp8 v[136:139], a[30:31], v[174:175], v[136:139]// 000000006288: D3F30088 0E235D1E
	v_mfma_f32_16x16x32_fp8_fp8 v[140:143], a[16:17], v[176:177], v[140:143]// 000000006290: D3F3008C 0E336110
	buffer_load_dwordx4 a[88:91], v33, s[92:95], 0 offen offset:2048// 000000006298: E05C1800 80975821
	v_mfma_f32_16x16x32_fp8_fp8 v[140:143], a[18:19], v[178:179], v[140:143]// 0000000062A0: D3F3008C 0E336512
	v_mfma_f32_16x16x32_fp8_fp8 v[140:143], a[20:21], v[180:181], v[140:143]// 0000000062A8: D3F3008C 0E336914
	buffer_load_dword v30, s[20:23], 0 offen lds               // 0000000062B0: E0511000 8005001E
	s_add_u32 m0, 0x700, s51                                   // 0000000062B8: 807C33FF 00000700
	v_mfma_f32_16x16x32_fp8_fp8 v[140:143], a[22:23], v[182:183], v[140:143]// 0000000062C0: D3F3008C 0E336D16
	v_mfma_f32_16x16x32_fp8_fp8 v[140:143], a[24:25], v[184:185], v[140:143]// 0000000062C8: D3F3008C 0E337118
	buffer_load_dwordx4 a[92:95], v33, s[92:95], 0 offen offset:3072// 0000000062D0: E05C1C00 80975C21
	v_mfma_f32_16x16x32_fp8_fp8 v[140:143], a[26:27], v[186:187], v[140:143]// 0000000062D8: D3F3008C 0E33751A
	v_mfma_f32_16x16x32_fp8_fp8 v[140:143], a[28:29], v[188:189], v[140:143]// 0000000062E0: D3F3008C 0E33791C
	buffer_load_dword v31, s[20:23], 0 offen lds               // 0000000062E8: E0511000 8005001F
	s_add_u32 m0, 0, s50                                       // 0000000062F0: 807C3280
	v_mfma_f32_16x16x32_fp8_fp8 v[140:143], a[30:31], v[190:191], v[140:143]// 0000000062F4: D3F3008C 0E337D1E
	s_waitcnt vmcnt(20)                                        // 0000000062FC: BF8C4F74
	v_mfma_f32_16x16x32_fp8_fp8 v[144:147], a[32:33], v[160:161], v[144:147]// 000000006300: D3F30090 0E434120
	buffer_load_dwordx4 a[96:99], v34, s[92:95], 0 offen       // 000000006308: E05C1000 80976022
	v_mfma_f32_16x16x32_fp8_fp8 v[144:147], a[34:35], v[162:163], v[144:147]// 000000006310: D3F30090 0E434522
	v_mfma_f32_16x16x32_fp8_fp8 v[144:147], a[36:37], v[164:165], v[144:147]// 000000006318: D3F30090 0E434924
	v_mfma_f32_16x16x32_fp8_fp8 v[144:147], a[38:39], v[166:167], v[144:147]// 000000006320: D3F30090 0E434D26
	v_mfma_f32_16x16x32_fp8_fp8 v[144:147], a[40:41], v[168:169], v[144:147]// 000000006328: D3F30090 0E435128
	buffer_load_dwordx4 a[100:103], v34, s[92:95], 0 offen offset:1024// 000000006330: E05C1400 80976422
	v_mfma_f32_16x16x32_fp8_fp8 v[144:147], a[42:43], v[170:171], v[144:147]// 000000006338: D3F30090 0E43552A
	v_mfma_f32_16x16x32_fp8_fp8 v[144:147], a[44:45], v[172:173], v[144:147]// 000000006340: D3F30090 0E43592C
	v_mfma_f32_16x16x32_fp8_fp8 v[144:147], a[46:47], v[174:175], v[144:147]// 000000006348: D3F30090 0E435D2E
	v_mfma_f32_16x16x32_fp8_fp8 v[148:151], a[32:33], v[176:177], v[148:151]// 000000006350: D3F30094 0E536120
	buffer_load_dwordx4 a[104:107], v34, s[92:95], 0 offen offset:2048// 000000006358: E05C1800 80976822
	v_mfma_f32_16x16x32_fp8_fp8 v[148:151], a[34:35], v[178:179], v[148:151]// 000000006360: D3F30094 0E536522
	v_mfma_f32_16x16x32_fp8_fp8 v[148:151], a[36:37], v[180:181], v[148:151]// 000000006368: D3F30094 0E536924
	v_mfma_f32_16x16x32_fp8_fp8 v[148:151], a[38:39], v[182:183], v[148:151]// 000000006370: D3F30094 0E536D26
	v_mfma_f32_16x16x32_fp8_fp8 v[148:151], a[40:41], v[184:185], v[148:151]// 000000006378: D3F30094 0E537128
	buffer_load_dwordx4 a[108:111], v34, s[92:95], 0 offen offset:3072// 000000006380: E05C1C00 80976C22
	v_mfma_f32_16x16x32_fp8_fp8 v[148:151], a[42:43], v[186:187], v[148:151]// 000000006388: D3F30094 0E53752A
	v_mfma_f32_16x16x32_fp8_fp8 v[148:151], a[44:45], v[188:189], v[148:151]// 000000006390: D3F30094 0E53792C
	v_mfma_f32_16x16x32_fp8_fp8 v[148:151], a[46:47], v[190:191], v[148:151]// 000000006398: D3F30094 0E537D2E
	s_waitcnt vmcnt(20)                                        // 0000000063A0: BF8C4F74
	v_mfma_f32_16x16x32_fp8_fp8 v[152:155], a[48:49], v[160:161], v[152:155]// 0000000063A4: D3F30098 0E634130
	buffer_load_dwordx4 a[112:115], v35, s[92:95], 0 offen     // 0000000063AC: E05C1000 80977023
	v_mfma_f32_16x16x32_fp8_fp8 v[152:155], a[50:51], v[162:163], v[152:155]// 0000000063B4: D3F30098 0E634532
	v_mfma_f32_16x16x32_fp8_fp8 v[152:155], a[52:53], v[164:165], v[152:155]// 0000000063BC: D3F30098 0E634934
	v_mfma_f32_16x16x32_fp8_fp8 v[152:155], a[54:55], v[166:167], v[152:155]// 0000000063C4: D3F30098 0E634D36
	v_mfma_f32_16x16x32_fp8_fp8 v[152:155], a[56:57], v[168:169], v[152:155]// 0000000063CC: D3F30098 0E635138
	buffer_load_dwordx4 a[116:119], v35, s[92:95], 0 offen offset:1024// 0000000063D4: E05C1400 80977423
	v_mfma_f32_16x16x32_fp8_fp8 v[152:155], a[58:59], v[170:171], v[152:155]// 0000000063DC: D3F30098 0E63553A
	v_mfma_f32_16x16x32_fp8_fp8 v[152:155], a[60:61], v[172:173], v[152:155]// 0000000063E4: D3F30098 0E63593C
	v_mfma_f32_16x16x32_fp8_fp8 v[152:155], a[62:63], v[174:175], v[152:155]// 0000000063EC: D3F30098 0E635D3E
	v_mfma_f32_16x16x32_fp8_fp8 v[156:159], a[48:49], v[176:177], v[156:159]// 0000000063F4: D3F3009C 0E736130
	buffer_load_dwordx4 a[120:123], v35, s[92:95], 0 offen offset:2048// 0000000063FC: E05C1800 80977823
	v_mfma_f32_16x16x32_fp8_fp8 v[156:159], a[50:51], v[178:179], v[156:159]// 000000006404: D3F3009C 0E736532
	v_mfma_f32_16x16x32_fp8_fp8 v[156:159], a[52:53], v[180:181], v[156:159]// 00000000640C: D3F3009C 0E736934
	v_mfma_f32_16x16x32_fp8_fp8 v[156:159], a[54:55], v[182:183], v[156:159]// 000000006414: D3F3009C 0E736D36
	v_mfma_f32_16x16x32_fp8_fp8 v[156:159], a[56:57], v[184:185], v[156:159]// 00000000641C: D3F3009C 0E737138
	buffer_load_dwordx4 a[124:127], v35, s[92:95], 0 offen offset:3072// 000000006424: E05C1C00 80977C23
	v_mfma_f32_16x16x32_fp8_fp8 v[156:159], a[58:59], v[186:187], v[156:159]// 00000000642C: D3F3009C 0E73753A
	v_mfma_f32_16x16x32_fp8_fp8 v[156:159], a[60:61], v[188:189], v[156:159]// 000000006434: D3F3009C 0E73793C
	v_mfma_f32_16x16x32_fp8_fp8 v[156:159], a[62:63], v[190:191], v[156:159]// 00000000643C: D3F3009C 0E737D3E
	s_waitcnt vmcnt(8)                                         // 000000006444: BF8C0F78
	s_barrier                                                  // 000000006448: BF8A0000
	v_mfma_f32_16x16x32_fp8_fp8 v[64:67], a[64:65], v[160:161], v[64:67]// 00000000644C: D3F30040 0D034140
	buffer_load_dwordx4 a[0:3], v32, s[24:27], 0 offen         // 000000006454: E05C1000 80860020
	v_mfma_f32_16x16x32_fp8_fp8 v[64:67], a[66:67], v[162:163], v[64:67]// 00000000645C: D3F30040 0D034542
	v_mfma_f32_16x16x32_fp8_fp8 v[64:67], a[68:69], v[164:165], v[64:67]// 000000006464: D3F30040 0D034944
	v_mfma_f32_16x16x32_fp8_fp8 v[64:67], a[70:71], v[166:167], v[64:67]// 00000000646C: D3F30040 0D034D46
	v_mfma_f32_16x16x32_fp8_fp8 v[64:67], a[72:73], v[168:169], v[64:67]// 000000006474: D3F30040 0D035148
	buffer_load_dwordx4 a[4:7], v32, s[24:27], 0 offen offset:1024// 00000000647C: E05C1400 80860420
	v_mfma_f32_16x16x32_fp8_fp8 v[64:67], a[74:75], v[170:171], v[64:67]// 000000006484: D3F30040 0D03554A
	v_mfma_f32_16x16x32_fp8_fp8 v[64:67], a[76:77], v[172:173], v[64:67]// 00000000648C: D3F30040 0D03594C
	v_mfma_f32_16x16x32_fp8_fp8 v[64:67], a[78:79], v[174:175], v[64:67]// 000000006494: D3F30040 0D035D4E
	v_mfma_f32_16x16x32_fp8_fp8 v[68:71], a[64:65], v[176:177], v[68:71]// 00000000649C: D3F30044 0D136140
	buffer_load_dwordx4 a[8:11], v32, s[24:27], 0 offen offset:2048// 0000000064A4: E05C1800 80860820
	v_mfma_f32_16x16x32_fp8_fp8 v[68:71], a[66:67], v[178:179], v[68:71]// 0000000064AC: D3F30044 0D136542
	v_mfma_f32_16x16x32_fp8_fp8 v[68:71], a[68:69], v[180:181], v[68:71]// 0000000064B4: D3F30044 0D136944
	v_mfma_f32_16x16x32_fp8_fp8 v[68:71], a[70:71], v[182:183], v[68:71]// 0000000064BC: D3F30044 0D136D46
	v_mfma_f32_16x16x32_fp8_fp8 v[68:71], a[72:73], v[184:185], v[68:71]// 0000000064C4: D3F30044 0D137148
	buffer_load_dwordx4 a[12:15], v32, s[24:27], 0 offen offset:3072// 0000000064CC: E05C1C00 80860C20
	v_mfma_f32_16x16x32_fp8_fp8 v[68:71], a[74:75], v[186:187], v[68:71]// 0000000064D4: D3F30044 0D13754A
	v_mfma_f32_16x16x32_fp8_fp8 v[68:71], a[76:77], v[188:189], v[68:71]// 0000000064DC: D3F30044 0D13794C
	v_mfma_f32_16x16x32_fp8_fp8 v[68:71], a[78:79], v[190:191], v[68:71]// 0000000064E4: D3F30044 0D137D4E
	v_mfma_f32_16x16x32_fp8_fp8 v[72:75], a[80:81], v[160:161], v[72:75]// 0000000064EC: D3F30048 0D234150
	buffer_load_dwordx4 a[16:19], v33, s[24:27], 0 offen       // 0000000064F4: E05C1000 80861021
	v_mfma_f32_16x16x32_fp8_fp8 v[72:75], a[82:83], v[162:163], v[72:75]// 0000000064FC: D3F30048 0D234552
	v_mfma_f32_16x16x32_fp8_fp8 v[72:75], a[84:85], v[164:165], v[72:75]// 000000006504: D3F30048 0D234954
	v_mfma_f32_16x16x32_fp8_fp8 v[72:75], a[86:87], v[166:167], v[72:75]// 00000000650C: D3F30048 0D234D56
	v_mfma_f32_16x16x32_fp8_fp8 v[72:75], a[88:89], v[168:169], v[72:75]// 000000006514: D3F30048 0D235158
	buffer_load_dwordx4 a[20:23], v33, s[24:27], 0 offen offset:1024// 00000000651C: E05C1400 80861421
	v_mfma_f32_16x16x32_fp8_fp8 v[72:75], a[90:91], v[170:171], v[72:75]// 000000006524: D3F30048 0D23555A
	v_mfma_f32_16x16x32_fp8_fp8 v[72:75], a[92:93], v[172:173], v[72:75]// 00000000652C: D3F30048 0D23595C
	v_mfma_f32_16x16x32_fp8_fp8 v[72:75], a[94:95], v[174:175], v[72:75]// 000000006534: D3F30048 0D235D5E
	v_mfma_f32_16x16x32_fp8_fp8 v[76:79], a[80:81], v[176:177], v[76:79]// 00000000653C: D3F3004C 0D336150
	buffer_load_dwordx4 a[24:27], v33, s[24:27], 0 offen offset:2048// 000000006544: E05C1800 80861821
	v_mfma_f32_16x16x32_fp8_fp8 v[76:79], a[82:83], v[178:179], v[76:79]// 00000000654C: D3F3004C 0D336552
	v_mfma_f32_16x16x32_fp8_fp8 v[76:79], a[84:85], v[180:181], v[76:79]// 000000006554: D3F3004C 0D336954
	v_mfma_f32_16x16x32_fp8_fp8 v[76:79], a[86:87], v[182:183], v[76:79]// 00000000655C: D3F3004C 0D336D56
	v_mfma_f32_16x16x32_fp8_fp8 v[76:79], a[88:89], v[184:185], v[76:79]// 000000006564: D3F3004C 0D337158
	buffer_load_dwordx4 a[28:31], v33, s[24:27], 0 offen offset:3072// 00000000656C: E05C1C00 80861C21
	v_mfma_f32_16x16x32_fp8_fp8 v[76:79], a[90:91], v[186:187], v[76:79]// 000000006574: D3F3004C 0D33755A
	v_mfma_f32_16x16x32_fp8_fp8 v[76:79], a[92:93], v[188:189], v[76:79]// 00000000657C: D3F3004C 0D33795C
	v_mfma_f32_16x16x32_fp8_fp8 v[76:79], a[94:95], v[190:191], v[76:79]// 000000006584: D3F3004C 0D337D5E
	s_waitcnt vmcnt(12)                                        // 00000000658C: BF8C0F7C
	v_mfma_f32_16x16x32_fp8_fp8 v[80:83], a[96:97], v[160:161], v[80:83]// 000000006590: D3F30050 0D434160
	buffer_load_dwordx4 a[32:35], v34, s[24:27], 0 offen       // 000000006598: E05C1000 80862022
	v_mfma_f32_16x16x32_fp8_fp8 v[80:83], a[98:99], v[162:163], v[80:83]// 0000000065A0: D3F30050 0D434562
	v_mfma_f32_16x16x32_fp8_fp8 v[80:83], a[100:101], v[164:165], v[80:83]// 0000000065A8: D3F30050 0D434964
	ds_read_b128 v[192:195], v2 offset:8320                    // 0000000065B0: D9FE2080 C0000002
	v_mfma_f32_16x16x32_fp8_fp8 v[80:83], a[102:103], v[166:167], v[80:83]// 0000000065B8: D3F30050 0D434D66
	v_mfma_f32_16x16x32_fp8_fp8 v[80:83], a[104:105], v[168:169], v[80:83]// 0000000065C0: D3F30050 0D435168
	buffer_load_dwordx4 a[36:39], v34, s[24:27], 0 offen offset:1024// 0000000065C8: E05C1400 80862422
	v_mfma_f32_16x16x32_fp8_fp8 v[80:83], a[106:107], v[170:171], v[80:83]// 0000000065D0: D3F30050 0D43556A
	v_mfma_f32_16x16x32_fp8_fp8 v[80:83], a[108:109], v[172:173], v[80:83]// 0000000065D8: D3F30050 0D43596C
	ds_read_b128 v[196:199], v2 offset:8384                    // 0000000065E0: D9FE20C0 C4000002
	v_mfma_f32_16x16x32_fp8_fp8 v[80:83], a[110:111], v[174:175], v[80:83]// 0000000065E8: D3F30050 0D435D6E
	v_mfma_f32_16x16x32_fp8_fp8 v[84:87], a[96:97], v[176:177], v[84:87]// 0000000065F0: D3F30054 0D536160
	buffer_load_dwordx4 a[40:43], v34, s[24:27], 0 offen offset:2048// 0000000065F8: E05C1800 80862822
	v_mfma_f32_16x16x32_fp8_fp8 v[84:87], a[98:99], v[178:179], v[84:87]// 000000006600: D3F30054 0D536562
	v_mfma_f32_16x16x32_fp8_fp8 v[84:87], a[100:101], v[180:181], v[84:87]// 000000006608: D3F30054 0D536964
	ds_read_b128 v[200:203], v2 offset:8448                    // 000000006610: D9FE2100 C8000002
	v_mfma_f32_16x16x32_fp8_fp8 v[84:87], a[102:103], v[182:183], v[84:87]// 000000006618: D3F30054 0D536D66
	v_mfma_f32_16x16x32_fp8_fp8 v[84:87], a[104:105], v[184:185], v[84:87]// 000000006620: D3F30054 0D537168
	buffer_load_dwordx4 a[44:47], v34, s[24:27], 0 offen offset:3072// 000000006628: E05C1C00 80862C22
	v_mfma_f32_16x16x32_fp8_fp8 v[84:87], a[106:107], v[186:187], v[84:87]// 000000006630: D3F30054 0D53756A
	v_mfma_f32_16x16x32_fp8_fp8 v[84:87], a[108:109], v[188:189], v[84:87]// 000000006638: D3F30054 0D53796C
	ds_read_b128 v[204:207], v2 offset:8512                    // 000000006640: D9FE2140 CC000002
	v_mfma_f32_16x16x32_fp8_fp8 v[84:87], a[110:111], v[190:191], v[84:87]// 000000006648: D3F30054 0D537D6E
	s_waitcnt vmcnt(12)                                        // 000000006650: BF8C0F7C
	v_mfma_f32_16x16x32_fp8_fp8 v[88:91], a[112:113], v[160:161], v[88:91]// 000000006654: D3F30058 0D634170
	buffer_load_dwordx4 a[48:51], v35, s[24:27], 0 offen       // 00000000665C: E05C1000 80863023
	v_mfma_f32_16x16x32_fp8_fp8 v[88:91], a[114:115], v[162:163], v[88:91]// 000000006664: D3F30058 0D634572
	v_mfma_f32_16x16x32_fp8_fp8 v[88:91], a[116:117], v[164:165], v[88:91]// 00000000666C: D3F30058 0D634974
	ds_read_b128 v[208:211], v2 offset:9344                    // 000000006674: D9FE2480 D0000002
	v_mfma_f32_16x16x32_fp8_fp8 v[88:91], a[118:119], v[166:167], v[88:91]// 00000000667C: D3F30058 0D634D76
	v_mfma_f32_16x16x32_fp8_fp8 v[88:91], a[120:121], v[168:169], v[88:91]// 000000006684: D3F30058 0D635178
	buffer_load_dwordx4 a[52:55], v35, s[24:27], 0 offen offset:1024// 00000000668C: E05C1400 80863423
	v_mfma_f32_16x16x32_fp8_fp8 v[88:91], a[122:123], v[170:171], v[88:91]// 000000006694: D3F30058 0D63557A
	v_mfma_f32_16x16x32_fp8_fp8 v[88:91], a[124:125], v[172:173], v[88:91]// 00000000669C: D3F30058 0D63597C
	ds_read_b128 v[212:215], v2 offset:9408                    // 0000000066A4: D9FE24C0 D4000002
	v_mfma_f32_16x16x32_fp8_fp8 v[88:91], a[126:127], v[174:175], v[88:91]// 0000000066AC: D3F30058 0D635D7E
	v_mfma_f32_16x16x32_fp8_fp8 v[92:95], a[112:113], v[176:177], v[92:95]// 0000000066B4: D3F3005C 0D736170
	buffer_load_dwordx4 a[56:59], v35, s[24:27], 0 offen offset:2048// 0000000066BC: E05C1800 80863823
	v_mfma_f32_16x16x32_fp8_fp8 v[92:95], a[114:115], v[178:179], v[92:95]// 0000000066C4: D3F3005C 0D736572
	v_mfma_f32_16x16x32_fp8_fp8 v[92:95], a[116:117], v[180:181], v[92:95]// 0000000066CC: D3F3005C 0D736974
	ds_read_b128 v[216:219], v2 offset:9472                    // 0000000066D4: D9FE2500 D8000002
	v_mfma_f32_16x16x32_fp8_fp8 v[92:95], a[118:119], v[182:183], v[92:95]// 0000000066DC: D3F3005C 0D736D76
	v_mfma_f32_16x16x32_fp8_fp8 v[92:95], a[120:121], v[184:185], v[92:95]// 0000000066E4: D3F3005C 0D737178
	buffer_load_dwordx4 a[60:63], v35, s[24:27], 0 offen offset:3072// 0000000066EC: E05C1C00 80863C23
	v_mfma_f32_16x16x32_fp8_fp8 v[92:95], a[122:123], v[186:187], v[92:95]// 0000000066F4: D3F3005C 0D73757A
	v_mfma_f32_16x16x32_fp8_fp8 v[92:95], a[124:125], v[188:189], v[92:95]// 0000000066FC: D3F3005C 0D73797C
	ds_read_b128 v[220:223], v2 offset:9536                    // 000000006704: D9FE2540 DC000002
	v_mfma_f32_16x16x32_fp8_fp8 v[92:95], a[126:127], v[190:191], v[92:95]// 00000000670C: D3F3005C 0D737D7E
	s_add_u32 s60, 0x200, s80                                  // 000000006714: 803C50FF 00000200
	s_cmp_lt_u32 s60, s81                                      // 00000000671C: BF0A513C
	s_cselect_b32 s57, s57, 0                                  // 000000006720: 85398039
	s_add_u32 s60, 0x200, s80                                  // 000000006724: 803C50FF 00000200
	s_cmp_lt_u32 s60, s81                                      // 00000000672C: BF0A513C
	s_cselect_b32 s58, s58, 0                                  // 000000006730: 853A803A
	s_add_u32 s20, s57, s20                                    // 000000006734: 80141439
	s_addc_u32 s21, 0, s21                                     // 000000006738: 82151580
	s_add_u32 s24, s58, s24                                    // 00000000673C: 8018183A
	s_addc_u32 s25, 0, s25                                     // 000000006740: 82191980
	s_add_u32 s92, s90, s92                                    // 000000006744: 805C5C5A
	s_addc_u32 s93, 0, s93                                     // 000000006748: 825D5D80
	s_addk_i32 s80, 0x100                                      // 00000000674C: B7500100
	s_cmp_lt_i32 s80, s81                                      // 000000006750: BF045150
	s_cbranch_scc0 label_0FDF                                  // 000000006754: BF840189
	s_waitcnt vmcnt(8) lgkmcnt(0)                              // 000000006758: BF8C0078
	s_barrier                                                  // 00000000675C: BF8A0000
	v_mfma_f32_16x16x32_fp8_fp8 v[128:131], a[0:1], v[192:193], v[128:131]// 000000006760: D3F30080 0E038100
	buffer_load_dwordx4 a[64:67], v32, s[92:95], 0 offen       // 000000006768: E05C1000 80974020
	v_mfma_f32_16x16x32_fp8_fp8 v[128:131], a[2:3], v[194:195], v[128:131]// 000000006770: D3F30080 0E038502
	v_mfma_f32_16x16x32_fp8_fp8 v[128:131], a[4:5], v[196:197], v[128:131]// 000000006778: D3F30080 0E038904
	buffer_load_dword v24, s[20:23], 0 offen lds               // 000000006780: E0511000 80050018
	s_add_u32 m0, 0x100, s50                                   // 000000006788: 807C32FF 00000100
	v_mfma_f32_16x16x32_fp8_fp8 v[128:131], a[6:7], v[198:199], v[128:131]// 000000006790: D3F30080 0E038D06
	v_mfma_f32_16x16x32_fp8_fp8 v[128:131], a[8:9], v[200:201], v[128:131]// 000000006798: D3F30080 0E039108
	buffer_load_dwordx4 a[68:71], v32, s[92:95], 0 offen offset:1024// 0000000067A0: E05C1400 80974420
	v_mfma_f32_16x16x32_fp8_fp8 v[128:131], a[10:11], v[202:203], v[128:131]// 0000000067A8: D3F30080 0E03950A
	v_mfma_f32_16x16x32_fp8_fp8 v[128:131], a[12:13], v[204:205], v[128:131]// 0000000067B0: D3F30080 0E03990C
	buffer_load_dword v25, s[20:23], 0 offen lds               // 0000000067B8: E0511000 80050019
	s_add_u32 m0, 0x200, s50                                   // 0000000067C0: 807C32FF 00000200
	v_mfma_f32_16x16x32_fp8_fp8 v[128:131], a[14:15], v[206:207], v[128:131]// 0000000067C8: D3F30080 0E039D0E
	v_mfma_f32_16x16x32_fp8_fp8 v[132:135], a[0:1], v[208:209], v[132:135]// 0000000067D0: D3F30084 0E13A100
	buffer_load_dwordx4 a[72:75], v32, s[92:95], 0 offen offset:2048// 0000000067D8: E05C1800 80974820
	v_mfma_f32_16x16x32_fp8_fp8 v[132:135], a[2:3], v[210:211], v[132:135]// 0000000067E0: D3F30084 0E13A502
	v_mfma_f32_16x16x32_fp8_fp8 v[132:135], a[4:5], v[212:213], v[132:135]// 0000000067E8: D3F30084 0E13A904
	buffer_load_dword v26, s[20:23], 0 offen lds               // 0000000067F0: E0511000 8005001A
	s_add_u32 m0, 0x300, s50                                   // 0000000067F8: 807C32FF 00000300
	v_mfma_f32_16x16x32_fp8_fp8 v[132:135], a[6:7], v[214:215], v[132:135]// 000000006800: D3F30084 0E13AD06
	v_mfma_f32_16x16x32_fp8_fp8 v[132:135], a[8:9], v[216:217], v[132:135]// 000000006808: D3F30084 0E13B108
	buffer_load_dwordx4 a[76:79], v32, s[92:95], 0 offen offset:3072// 000000006810: E05C1C00 80974C20
	v_mfma_f32_16x16x32_fp8_fp8 v[132:135], a[10:11], v[218:219], v[132:135]// 000000006818: D3F30084 0E13B50A
	v_mfma_f32_16x16x32_fp8_fp8 v[132:135], a[12:13], v[220:221], v[132:135]// 000000006820: D3F30084 0E13B90C
	buffer_load_dword v27, s[20:23], 0 offen lds               // 000000006828: E0511000 8005001B
	s_add_u32 m0, 0x400, s50                                   // 000000006830: 807C32FF 00000400
	v_mfma_f32_16x16x32_fp8_fp8 v[132:135], a[14:15], v[222:223], v[132:135]// 000000006838: D3F30084 0E13BD0E
	v_mfma_f32_16x16x32_fp8_fp8 v[136:139], a[16:17], v[192:193], v[136:139]// 000000006840: D3F30088 0E238110
	buffer_load_dwordx4 a[80:83], v33, s[92:95], 0 offen       // 000000006848: E05C1000 80975021
	v_mfma_f32_16x16x32_fp8_fp8 v[136:139], a[18:19], v[194:195], v[136:139]// 000000006850: D3F30088 0E238512
	v_mfma_f32_16x16x32_fp8_fp8 v[136:139], a[20:21], v[196:197], v[136:139]// 000000006858: D3F30088 0E238914
	buffer_load_dword v28, s[20:23], 0 offen lds               // 000000006860: E0511000 8005001C
	s_add_u32 m0, 0x500, s50                                   // 000000006868: 807C32FF 00000500
	v_mfma_f32_16x16x32_fp8_fp8 v[136:139], a[22:23], v[198:199], v[136:139]// 000000006870: D3F30088 0E238D16
	v_mfma_f32_16x16x32_fp8_fp8 v[136:139], a[24:25], v[200:201], v[136:139]// 000000006878: D3F30088 0E239118
	buffer_load_dwordx4 a[84:87], v33, s[92:95], 0 offen offset:1024// 000000006880: E05C1400 80975421
	v_mfma_f32_16x16x32_fp8_fp8 v[136:139], a[26:27], v[202:203], v[136:139]// 000000006888: D3F30088 0E23951A
	v_mfma_f32_16x16x32_fp8_fp8 v[136:139], a[28:29], v[204:205], v[136:139]// 000000006890: D3F30088 0E23991C
	buffer_load_dword v29, s[20:23], 0 offen lds               // 000000006898: E0511000 8005001D
	s_add_u32 m0, 0x600, s50                                   // 0000000068A0: 807C32FF 00000600
	v_mfma_f32_16x16x32_fp8_fp8 v[136:139], a[30:31], v[206:207], v[136:139]// 0000000068A8: D3F30088 0E239D1E
	v_mfma_f32_16x16x32_fp8_fp8 v[140:143], a[16:17], v[208:209], v[140:143]// 0000000068B0: D3F3008C 0E33A110
	buffer_load_dwordx4 a[88:91], v33, s[92:95], 0 offen offset:2048// 0000000068B8: E05C1800 80975821
	v_mfma_f32_16x16x32_fp8_fp8 v[140:143], a[18:19], v[210:211], v[140:143]// 0000000068C0: D3F3008C 0E33A512
	v_mfma_f32_16x16x32_fp8_fp8 v[140:143], a[20:21], v[212:213], v[140:143]// 0000000068C8: D3F3008C 0E33A914
	buffer_load_dword v30, s[20:23], 0 offen lds               // 0000000068D0: E0511000 8005001E
	s_add_u32 m0, 0x700, s50                                   // 0000000068D8: 807C32FF 00000700
	v_mfma_f32_16x16x32_fp8_fp8 v[140:143], a[22:23], v[214:215], v[140:143]// 0000000068E0: D3F3008C 0E33AD16
	v_mfma_f32_16x16x32_fp8_fp8 v[140:143], a[24:25], v[216:217], v[140:143]// 0000000068E8: D3F3008C 0E33B118
	buffer_load_dwordx4 a[92:95], v33, s[92:95], 0 offen offset:3072// 0000000068F0: E05C1C00 80975C21
	v_mfma_f32_16x16x32_fp8_fp8 v[140:143], a[26:27], v[218:219], v[140:143]// 0000000068F8: D3F3008C 0E33B51A
	v_mfma_f32_16x16x32_fp8_fp8 v[140:143], a[28:29], v[220:221], v[140:143]// 000000006900: D3F3008C 0E33B91C
	buffer_load_dword v31, s[20:23], 0 offen lds               // 000000006908: E0511000 8005001F
	s_add_u32 m0, 0, s51                                       // 000000006910: 807C3380
	v_mfma_f32_16x16x32_fp8_fp8 v[140:143], a[30:31], v[222:223], v[140:143]// 000000006914: D3F3008C 0E33BD1E
	s_waitcnt vmcnt(20)                                        // 00000000691C: BF8C4F74
	v_mfma_f32_16x16x32_fp8_fp8 v[144:147], a[32:33], v[192:193], v[144:147]// 000000006920: D3F30090 0E438120
	buffer_load_dwordx4 a[96:99], v34, s[92:95], 0 offen       // 000000006928: E05C1000 80976022
	v_mfma_f32_16x16x32_fp8_fp8 v[144:147], a[34:35], v[194:195], v[144:147]// 000000006930: D3F30090 0E438522
	v_mfma_f32_16x16x32_fp8_fp8 v[144:147], a[36:37], v[196:197], v[144:147]// 000000006938: D3F30090 0E438924
	v_mfma_f32_16x16x32_fp8_fp8 v[144:147], a[38:39], v[198:199], v[144:147]// 000000006940: D3F30090 0E438D26
	v_mfma_f32_16x16x32_fp8_fp8 v[144:147], a[40:41], v[200:201], v[144:147]// 000000006948: D3F30090 0E439128
	buffer_load_dwordx4 a[100:103], v34, s[92:95], 0 offen offset:1024// 000000006950: E05C1400 80976422
	v_mfma_f32_16x16x32_fp8_fp8 v[144:147], a[42:43], v[202:203], v[144:147]// 000000006958: D3F30090 0E43952A
	v_mfma_f32_16x16x32_fp8_fp8 v[144:147], a[44:45], v[204:205], v[144:147]// 000000006960: D3F30090 0E43992C
	v_mfma_f32_16x16x32_fp8_fp8 v[144:147], a[46:47], v[206:207], v[144:147]// 000000006968: D3F30090 0E439D2E
	v_mfma_f32_16x16x32_fp8_fp8 v[148:151], a[32:33], v[208:209], v[148:151]// 000000006970: D3F30094 0E53A120
	buffer_load_dwordx4 a[104:107], v34, s[92:95], 0 offen offset:2048// 000000006978: E05C1800 80976822
	v_mfma_f32_16x16x32_fp8_fp8 v[148:151], a[34:35], v[210:211], v[148:151]// 000000006980: D3F30094 0E53A522
	v_mfma_f32_16x16x32_fp8_fp8 v[148:151], a[36:37], v[212:213], v[148:151]// 000000006988: D3F30094 0E53A924
	v_mfma_f32_16x16x32_fp8_fp8 v[148:151], a[38:39], v[214:215], v[148:151]// 000000006990: D3F30094 0E53AD26
	v_mfma_f32_16x16x32_fp8_fp8 v[148:151], a[40:41], v[216:217], v[148:151]// 000000006998: D3F30094 0E53B128
	buffer_load_dwordx4 a[108:111], v34, s[92:95], 0 offen offset:3072// 0000000069A0: E05C1C00 80976C22
	v_mfma_f32_16x16x32_fp8_fp8 v[148:151], a[42:43], v[218:219], v[148:151]// 0000000069A8: D3F30094 0E53B52A
	v_mfma_f32_16x16x32_fp8_fp8 v[148:151], a[44:45], v[220:221], v[148:151]// 0000000069B0: D3F30094 0E53B92C
	v_mfma_f32_16x16x32_fp8_fp8 v[148:151], a[46:47], v[222:223], v[148:151]// 0000000069B8: D3F30094 0E53BD2E
	s_waitcnt vmcnt(20)                                        // 0000000069C0: BF8C4F74
	v_mfma_f32_16x16x32_fp8_fp8 v[152:155], a[48:49], v[192:193], v[152:155]// 0000000069C4: D3F30098 0E638130
	buffer_load_dwordx4 a[112:115], v35, s[92:95], 0 offen     // 0000000069CC: E05C1000 80977023
	v_mfma_f32_16x16x32_fp8_fp8 v[152:155], a[50:51], v[194:195], v[152:155]// 0000000069D4: D3F30098 0E638532
	v_mfma_f32_16x16x32_fp8_fp8 v[152:155], a[52:53], v[196:197], v[152:155]// 0000000069DC: D3F30098 0E638934
	v_mfma_f32_16x16x32_fp8_fp8 v[152:155], a[54:55], v[198:199], v[152:155]// 0000000069E4: D3F30098 0E638D36
	v_mfma_f32_16x16x32_fp8_fp8 v[152:155], a[56:57], v[200:201], v[152:155]// 0000000069EC: D3F30098 0E639138
	buffer_load_dwordx4 a[116:119], v35, s[92:95], 0 offen offset:1024// 0000000069F4: E05C1400 80977423
	v_mfma_f32_16x16x32_fp8_fp8 v[152:155], a[58:59], v[202:203], v[152:155]// 0000000069FC: D3F30098 0E63953A
	v_mfma_f32_16x16x32_fp8_fp8 v[152:155], a[60:61], v[204:205], v[152:155]// 000000006A04: D3F30098 0E63993C
	v_mfma_f32_16x16x32_fp8_fp8 v[152:155], a[62:63], v[206:207], v[152:155]// 000000006A0C: D3F30098 0E639D3E
	v_mfma_f32_16x16x32_fp8_fp8 v[156:159], a[48:49], v[208:209], v[156:159]// 000000006A14: D3F3009C 0E73A130
	buffer_load_dwordx4 a[120:123], v35, s[92:95], 0 offen offset:2048// 000000006A1C: E05C1800 80977823
	v_mfma_f32_16x16x32_fp8_fp8 v[156:159], a[50:51], v[210:211], v[156:159]// 000000006A24: D3F3009C 0E73A532
	v_mfma_f32_16x16x32_fp8_fp8 v[156:159], a[52:53], v[212:213], v[156:159]// 000000006A2C: D3F3009C 0E73A934
	v_mfma_f32_16x16x32_fp8_fp8 v[156:159], a[54:55], v[214:215], v[156:159]// 000000006A34: D3F3009C 0E73AD36
	v_mfma_f32_16x16x32_fp8_fp8 v[156:159], a[56:57], v[216:217], v[156:159]// 000000006A3C: D3F3009C 0E73B138
	buffer_load_dwordx4 a[124:127], v35, s[92:95], 0 offen offset:3072// 000000006A44: E05C1C00 80977C23
	v_mfma_f32_16x16x32_fp8_fp8 v[156:159], a[58:59], v[218:219], v[156:159]// 000000006A4C: D3F3009C 0E73B53A
	v_mfma_f32_16x16x32_fp8_fp8 v[156:159], a[60:61], v[220:221], v[156:159]// 000000006A54: D3F3009C 0E73B93C
	v_mfma_f32_16x16x32_fp8_fp8 v[156:159], a[62:63], v[222:223], v[156:159]// 000000006A5C: D3F3009C 0E73BD3E
	s_waitcnt vmcnt(8)                                         // 000000006A64: BF8C0F78
	s_barrier                                                  // 000000006A68: BF8A0000
	v_mfma_f32_16x16x32_fp8_fp8 v[64:67], a[64:65], v[192:193], v[64:67]// 000000006A6C: D3F30040 0D038140
	buffer_load_dwordx4 a[0:3], v32, s[24:27], 0 offen         // 000000006A74: E05C1000 80860020
	v_mfma_f32_16x16x32_fp8_fp8 v[64:67], a[66:67], v[194:195], v[64:67]// 000000006A7C: D3F30040 0D038542
	v_mfma_f32_16x16x32_fp8_fp8 v[64:67], a[68:69], v[196:197], v[64:67]// 000000006A84: D3F30040 0D038944
	v_mfma_f32_16x16x32_fp8_fp8 v[64:67], a[70:71], v[198:199], v[64:67]// 000000006A8C: D3F30040 0D038D46
	v_mfma_f32_16x16x32_fp8_fp8 v[64:67], a[72:73], v[200:201], v[64:67]// 000000006A94: D3F30040 0D039148
	buffer_load_dwordx4 a[4:7], v32, s[24:27], 0 offen offset:1024// 000000006A9C: E05C1400 80860420
	v_mfma_f32_16x16x32_fp8_fp8 v[64:67], a[74:75], v[202:203], v[64:67]// 000000006AA4: D3F30040 0D03954A
	v_mfma_f32_16x16x32_fp8_fp8 v[64:67], a[76:77], v[204:205], v[64:67]// 000000006AAC: D3F30040 0D03994C
	v_mfma_f32_16x16x32_fp8_fp8 v[64:67], a[78:79], v[206:207], v[64:67]// 000000006AB4: D3F30040 0D039D4E
	v_mfma_f32_16x16x32_fp8_fp8 v[68:71], a[64:65], v[208:209], v[68:71]// 000000006ABC: D3F30044 0D13A140
	buffer_load_dwordx4 a[8:11], v32, s[24:27], 0 offen offset:2048// 000000006AC4: E05C1800 80860820
	v_mfma_f32_16x16x32_fp8_fp8 v[68:71], a[66:67], v[210:211], v[68:71]// 000000006ACC: D3F30044 0D13A542
	v_mfma_f32_16x16x32_fp8_fp8 v[68:71], a[68:69], v[212:213], v[68:71]// 000000006AD4: D3F30044 0D13A944
	v_mfma_f32_16x16x32_fp8_fp8 v[68:71], a[70:71], v[214:215], v[68:71]// 000000006ADC: D3F30044 0D13AD46
	v_mfma_f32_16x16x32_fp8_fp8 v[68:71], a[72:73], v[216:217], v[68:71]// 000000006AE4: D3F30044 0D13B148
	buffer_load_dwordx4 a[12:15], v32, s[24:27], 0 offen offset:3072// 000000006AEC: E05C1C00 80860C20
	v_mfma_f32_16x16x32_fp8_fp8 v[68:71], a[74:75], v[218:219], v[68:71]// 000000006AF4: D3F30044 0D13B54A
	v_mfma_f32_16x16x32_fp8_fp8 v[68:71], a[76:77], v[220:221], v[68:71]// 000000006AFC: D3F30044 0D13B94C
	v_mfma_f32_16x16x32_fp8_fp8 v[68:71], a[78:79], v[222:223], v[68:71]// 000000006B04: D3F30044 0D13BD4E
	v_mfma_f32_16x16x32_fp8_fp8 v[72:75], a[80:81], v[192:193], v[72:75]// 000000006B0C: D3F30048 0D238150
	buffer_load_dwordx4 a[16:19], v33, s[24:27], 0 offen       // 000000006B14: E05C1000 80861021
	v_mfma_f32_16x16x32_fp8_fp8 v[72:75], a[82:83], v[194:195], v[72:75]// 000000006B1C: D3F30048 0D238552
	v_mfma_f32_16x16x32_fp8_fp8 v[72:75], a[84:85], v[196:197], v[72:75]// 000000006B24: D3F30048 0D238954
	v_mfma_f32_16x16x32_fp8_fp8 v[72:75], a[86:87], v[198:199], v[72:75]// 000000006B2C: D3F30048 0D238D56
	v_mfma_f32_16x16x32_fp8_fp8 v[72:75], a[88:89], v[200:201], v[72:75]// 000000006B34: D3F30048 0D239158
	buffer_load_dwordx4 a[20:23], v33, s[24:27], 0 offen offset:1024// 000000006B3C: E05C1400 80861421
	v_mfma_f32_16x16x32_fp8_fp8 v[72:75], a[90:91], v[202:203], v[72:75]// 000000006B44: D3F30048 0D23955A
	v_mfma_f32_16x16x32_fp8_fp8 v[72:75], a[92:93], v[204:205], v[72:75]// 000000006B4C: D3F30048 0D23995C
	v_mfma_f32_16x16x32_fp8_fp8 v[72:75], a[94:95], v[206:207], v[72:75]// 000000006B54: D3F30048 0D239D5E
	v_mfma_f32_16x16x32_fp8_fp8 v[76:79], a[80:81], v[208:209], v[76:79]// 000000006B5C: D3F3004C 0D33A150
	buffer_load_dwordx4 a[24:27], v33, s[24:27], 0 offen offset:2048// 000000006B64: E05C1800 80861821
	v_mfma_f32_16x16x32_fp8_fp8 v[76:79], a[82:83], v[210:211], v[76:79]// 000000006B6C: D3F3004C 0D33A552
	v_mfma_f32_16x16x32_fp8_fp8 v[76:79], a[84:85], v[212:213], v[76:79]// 000000006B74: D3F3004C 0D33A954
	v_mfma_f32_16x16x32_fp8_fp8 v[76:79], a[86:87], v[214:215], v[76:79]// 000000006B7C: D3F3004C 0D33AD56
	v_mfma_f32_16x16x32_fp8_fp8 v[76:79], a[88:89], v[216:217], v[76:79]// 000000006B84: D3F3004C 0D33B158
	buffer_load_dwordx4 a[28:31], v33, s[24:27], 0 offen offset:3072// 000000006B8C: E05C1C00 80861C21
	v_mfma_f32_16x16x32_fp8_fp8 v[76:79], a[90:91], v[218:219], v[76:79]// 000000006B94: D3F3004C 0D33B55A
	v_mfma_f32_16x16x32_fp8_fp8 v[76:79], a[92:93], v[220:221], v[76:79]// 000000006B9C: D3F3004C 0D33B95C
	v_mfma_f32_16x16x32_fp8_fp8 v[76:79], a[94:95], v[222:223], v[76:79]// 000000006BA4: D3F3004C 0D33BD5E
	s_waitcnt vmcnt(12)                                        // 000000006BAC: BF8C0F7C
	v_mfma_f32_16x16x32_fp8_fp8 v[80:83], a[96:97], v[192:193], v[80:83]// 000000006BB0: D3F30050 0D438160
	buffer_load_dwordx4 a[32:35], v34, s[24:27], 0 offen       // 000000006BB8: E05C1000 80862022
	v_mfma_f32_16x16x32_fp8_fp8 v[80:83], a[98:99], v[194:195], v[80:83]// 000000006BC0: D3F30050 0D438562
	v_mfma_f32_16x16x32_fp8_fp8 v[80:83], a[100:101], v[196:197], v[80:83]// 000000006BC8: D3F30050 0D438964
	ds_read_b128 v[160:163], v2                                // 000000006BD0: D9FE0000 A0000002
	v_mfma_f32_16x16x32_fp8_fp8 v[80:83], a[102:103], v[198:199], v[80:83]// 000000006BD8: D3F30050 0D438D66
	v_mfma_f32_16x16x32_fp8_fp8 v[80:83], a[104:105], v[200:201], v[80:83]// 000000006BE0: D3F30050 0D439168
	buffer_load_dwordx4 a[36:39], v34, s[24:27], 0 offen offset:1024// 000000006BE8: E05C1400 80862422
	v_mfma_f32_16x16x32_fp8_fp8 v[80:83], a[106:107], v[202:203], v[80:83]// 000000006BF0: D3F30050 0D43956A
	v_mfma_f32_16x16x32_fp8_fp8 v[80:83], a[108:109], v[204:205], v[80:83]// 000000006BF8: D3F30050 0D43996C
	ds_read_b128 v[164:167], v2 offset:64                      // 000000006C00: D9FE0040 A4000002
	v_mfma_f32_16x16x32_fp8_fp8 v[80:83], a[110:111], v[206:207], v[80:83]// 000000006C08: D3F30050 0D439D6E
	v_mfma_f32_16x16x32_fp8_fp8 v[84:87], a[96:97], v[208:209], v[84:87]// 000000006C10: D3F30054 0D53A160
	buffer_load_dwordx4 a[40:43], v34, s[24:27], 0 offen offset:2048// 000000006C18: E05C1800 80862822
	v_mfma_f32_16x16x32_fp8_fp8 v[84:87], a[98:99], v[210:211], v[84:87]// 000000006C20: D3F30054 0D53A562
	v_mfma_f32_16x16x32_fp8_fp8 v[84:87], a[100:101], v[212:213], v[84:87]// 000000006C28: D3F30054 0D53A964
	ds_read_b128 v[168:171], v2 offset:128                     // 000000006C30: D9FE0080 A8000002
	v_mfma_f32_16x16x32_fp8_fp8 v[84:87], a[102:103], v[214:215], v[84:87]// 000000006C38: D3F30054 0D53AD66
	v_mfma_f32_16x16x32_fp8_fp8 v[84:87], a[104:105], v[216:217], v[84:87]// 000000006C40: D3F30054 0D53B168
	buffer_load_dwordx4 a[44:47], v34, s[24:27], 0 offen offset:3072// 000000006C48: E05C1C00 80862C22
	v_mfma_f32_16x16x32_fp8_fp8 v[84:87], a[106:107], v[218:219], v[84:87]// 000000006C50: D3F30054 0D53B56A
	v_mfma_f32_16x16x32_fp8_fp8 v[84:87], a[108:109], v[220:221], v[84:87]// 000000006C58: D3F30054 0D53B96C
	ds_read_b128 v[172:175], v2 offset:192                     // 000000006C60: D9FE00C0 AC000002
	v_mfma_f32_16x16x32_fp8_fp8 v[84:87], a[110:111], v[222:223], v[84:87]// 000000006C68: D3F30054 0D53BD6E
	s_waitcnt vmcnt(12)                                        // 000000006C70: BF8C0F7C
	v_mfma_f32_16x16x32_fp8_fp8 v[88:91], a[112:113], v[192:193], v[88:91]// 000000006C74: D3F30058 0D638170
	buffer_load_dwordx4 a[48:51], v35, s[24:27], 0 offen       // 000000006C7C: E05C1000 80863023
	v_mfma_f32_16x16x32_fp8_fp8 v[88:91], a[114:115], v[194:195], v[88:91]// 000000006C84: D3F30058 0D638572
	v_mfma_f32_16x16x32_fp8_fp8 v[88:91], a[116:117], v[196:197], v[88:91]// 000000006C8C: D3F30058 0D638974
	ds_read_b128 v[176:179], v2 offset:1024                    // 000000006C94: D9FE0400 B0000002
	v_mfma_f32_16x16x32_fp8_fp8 v[88:91], a[118:119], v[198:199], v[88:91]// 000000006C9C: D3F30058 0D638D76
	v_mfma_f32_16x16x32_fp8_fp8 v[88:91], a[120:121], v[200:201], v[88:91]// 000000006CA4: D3F30058 0D639178
	buffer_load_dwordx4 a[52:55], v35, s[24:27], 0 offen offset:1024// 000000006CAC: E05C1400 80863423
	v_mfma_f32_16x16x32_fp8_fp8 v[88:91], a[122:123], v[202:203], v[88:91]// 000000006CB4: D3F30058 0D63957A
	v_mfma_f32_16x16x32_fp8_fp8 v[88:91], a[124:125], v[204:205], v[88:91]// 000000006CBC: D3F30058 0D63997C
	ds_read_b128 v[180:183], v2 offset:1088                    // 000000006CC4: D9FE0440 B4000002
	v_mfma_f32_16x16x32_fp8_fp8 v[88:91], a[126:127], v[206:207], v[88:91]// 000000006CCC: D3F30058 0D639D7E
	v_mfma_f32_16x16x32_fp8_fp8 v[92:95], a[112:113], v[208:209], v[92:95]// 000000006CD4: D3F3005C 0D73A170
	buffer_load_dwordx4 a[56:59], v35, s[24:27], 0 offen offset:2048// 000000006CDC: E05C1800 80863823
	v_mfma_f32_16x16x32_fp8_fp8 v[92:95], a[114:115], v[210:211], v[92:95]// 000000006CE4: D3F3005C 0D73A572
	v_mfma_f32_16x16x32_fp8_fp8 v[92:95], a[116:117], v[212:213], v[92:95]// 000000006CEC: D3F3005C 0D73A974
	ds_read_b128 v[184:187], v2 offset:1152                    // 000000006CF4: D9FE0480 B8000002
	v_mfma_f32_16x16x32_fp8_fp8 v[92:95], a[118:119], v[214:215], v[92:95]// 000000006CFC: D3F3005C 0D73AD76
	v_mfma_f32_16x16x32_fp8_fp8 v[92:95], a[120:121], v[216:217], v[92:95]// 000000006D04: D3F3005C 0D73B178
	buffer_load_dwordx4 a[60:63], v35, s[24:27], 0 offen offset:3072// 000000006D0C: E05C1C00 80863C23
	v_mfma_f32_16x16x32_fp8_fp8 v[92:95], a[122:123], v[218:219], v[92:95]// 000000006D14: D3F3005C 0D73B57A
	v_mfma_f32_16x16x32_fp8_fp8 v[92:95], a[124:125], v[220:221], v[92:95]// 000000006D1C: D3F3005C 0D73B97C
	ds_read_b128 v[188:191], v2 offset:1216                    // 000000006D24: D9FE04C0 BC000002
	v_mfma_f32_16x16x32_fp8_fp8 v[92:95], a[126:127], v[222:223], v[92:95]// 000000006D2C: D3F3005C 0D73BD7E
	s_add_u32 s60, 0x200, s80                                  // 000000006D34: 803C50FF 00000200
	s_cmp_lt_u32 s60, s81                                      // 000000006D3C: BF0A513C
	s_cselect_b32 s57, s57, 0                                  // 000000006D40: 85398039
	s_add_u32 s60, 0x200, s80                                  // 000000006D44: 803C50FF 00000200
	s_cmp_lt_u32 s60, s81                                      // 000000006D4C: BF0A513C
	s_cselect_b32 s58, s58, 0                                  // 000000006D50: 853A803A
	s_add_u32 s20, s57, s20                                    // 000000006D54: 80141439
	s_addc_u32 s21, 0, s21                                     // 000000006D58: 82151580
	s_add_u32 s24, s58, s24                                    // 000000006D5C: 8018183A
	s_addc_u32 s25, 0, s25                                     // 000000006D60: 82191980
	s_add_u32 s92, s90, s92                                    // 000000006D64: 805C5C5A
	s_addc_u32 s93, 0, s93                                     // 000000006D68: 825D5D80
	s_addk_i32 s80, 0x100                                      // 000000006D6C: B7500100
	s_cmp_lt_i32 s80, s81                                      // 000000006D70: BF045150
	s_cbranch_scc0 label_0FDF                                  // 000000006D74: BF840001
	s_branch label_0CCE                                        // 000000006D78: BF82FCEF

0000000000006d7c <label_0FDF>:
	s_mov_b32 s20, 0                                           // 000000006D7C: BE940080
	s_cmp_lt_u32 s89, s66                                      // 000000006D80: BF0A4259
	s_cselect_b32 s60, 0, 1                                    // 000000006D84: 853C8180
	s_lshl1_add_u32 s20, s20, s60                              // 000000006D88: 97143C14
	s_cmp_lt_u32 s88, s66                                      // 000000006D8C: BF0A4258
	s_cselect_b32 s60, 0, 1                                    // 000000006D90: 853C8180
	s_lshl1_add_u32 s20, s20, s60                              // 000000006D94: 97143C14
	s_cmp_lt_u32 s87, s66                                      // 000000006D98: BF0A4257
	s_cselect_b32 s60, 0, 1                                    // 000000006D9C: 853C8180
	s_lshl1_add_u32 s20, s20, s60                              // 000000006DA0: 97143C14
	s_cmp_lt_u32 s86, s66                                      // 000000006DA4: BF0A4256
	s_cselect_b32 s60, 0, 1                                    // 000000006DA8: 853C8180
	s_lshl1_add_u32 s20, s20, s60                              // 000000006DAC: 97143C14
	s_cmp_lt_u32 s85, s66                                      // 000000006DB0: BF0A4255
	s_cselect_b32 s60, 0, 1                                    // 000000006DB4: 853C8180
	s_lshl1_add_u32 s20, s20, s60                              // 000000006DB8: 97143C14
	s_cmp_lt_u32 s84, s66                                      // 000000006DBC: BF0A4254
	s_cselect_b32 s60, 0, 1                                    // 000000006DC0: 853C8180
	s_lshl1_add_u32 s20, s20, s60                              // 000000006DC4: 97143C14
	s_cmp_lt_u32 s83, s66                                      // 000000006DC8: BF0A4253
	s_cselect_b32 s60, 0, 1                                    // 000000006DCC: 853C8180
	s_lshl1_add_u32 s20, s20, s60                              // 000000006DD0: 97143C14
	s_cmp_lt_u32 s82, s66                                      // 000000006DD4: BF0A4252
	s_cselect_b32 s60, 0, 1                                    // 000000006DD8: 853C8180
	s_lshl1_add_u32 s20, s20, s60                              // 000000006DDC: 97143C14
	v_mul_f32_e32 v128, v13, v128                              // 000000006DE0: 0B01010D
	v_mul_f32_e32 v129, v13, v129                              // 000000006DE4: 0B03030D
	v_mul_f32_e32 v130, v13, v130                              // 000000006DE8: 0B05050D
	v_mul_f32_e32 v131, v13, v131                              // 000000006DEC: 0B07070D
	v_mul_f32_dpp v128, v15, v128 row_newbcast:0 row_mask:0xf bank_mask:0xf// 000000006DF0: 0B0100FA FF01500F
	v_mul_f32_dpp v129, v15, v129 row_newbcast:1 row_mask:0xf bank_mask:0xf// 000000006DF8: 0B0302FA FF01510F
	v_mul_f32_dpp v130, v15, v130 row_newbcast:2 row_mask:0xf bank_mask:0xf// 000000006E00: 0B0504FA FF01520F
	v_mul_f32_dpp v131, v15, v131 row_newbcast:3 row_mask:0xf bank_mask:0xf// 000000006E08: 0B0706FA FF01530F
	v_mul_f32_e32 v132, v14, v132                              // 000000006E10: 0B09090E
	v_mul_f32_e32 v133, v14, v133                              // 000000006E14: 0B0B0B0E
	v_mul_f32_e32 v134, v14, v134                              // 000000006E18: 0B0D0D0E
	v_mul_f32_e32 v135, v14, v135                              // 000000006E1C: 0B0F0F0E
	v_mul_f32_dpp v132, v15, v132 row_newbcast:0 row_mask:0xf bank_mask:0xf// 000000006E20: 0B0908FA FF01500F
	v_mul_f32_dpp v133, v15, v133 row_newbcast:1 row_mask:0xf bank_mask:0xf// 000000006E28: 0B0B0AFA FF01510F
	v_mul_f32_dpp v134, v15, v134 row_newbcast:2 row_mask:0xf bank_mask:0xf// 000000006E30: 0B0D0CFA FF01520F
	v_mul_f32_dpp v135, v15, v135 row_newbcast:3 row_mask:0xf bank_mask:0xf// 000000006E38: 0B0F0EFA FF01530F
	v_mul_f32_e32 v136, v13, v136                              // 000000006E40: 0B11110D
	v_mul_f32_e32 v137, v13, v137                              // 000000006E44: 0B13130D
	v_mul_f32_e32 v138, v13, v138                              // 000000006E48: 0B15150D
	v_mul_f32_e32 v139, v13, v139                              // 000000006E4C: 0B17170D
	v_mul_f32_dpp v136, v15, v136 row_newbcast:4 row_mask:0xf bank_mask:0xf// 000000006E50: 0B1110FA FF01540F
	v_mul_f32_dpp v137, v15, v137 row_newbcast:5 row_mask:0xf bank_mask:0xf// 000000006E58: 0B1312FA FF01550F
	v_mul_f32_dpp v138, v15, v138 row_newbcast:6 row_mask:0xf bank_mask:0xf// 000000006E60: 0B1514FA FF01560F
	v_mul_f32_dpp v139, v15, v139 row_newbcast:7 row_mask:0xf bank_mask:0xf// 000000006E68: 0B1716FA FF01570F
	v_mul_f32_e32 v140, v14, v140                              // 000000006E70: 0B19190E
	v_mul_f32_e32 v141, v14, v141                              // 000000006E74: 0B1B1B0E
	v_mul_f32_e32 v142, v14, v142                              // 000000006E78: 0B1D1D0E
	v_mul_f32_e32 v143, v14, v143                              // 000000006E7C: 0B1F1F0E
	v_mul_f32_dpp v140, v15, v140 row_newbcast:4 row_mask:0xf bank_mask:0xf// 000000006E80: 0B1918FA FF01540F
	v_mul_f32_dpp v141, v15, v141 row_newbcast:5 row_mask:0xf bank_mask:0xf// 000000006E88: 0B1B1AFA FF01550F
	v_mul_f32_dpp v142, v15, v142 row_newbcast:6 row_mask:0xf bank_mask:0xf// 000000006E90: 0B1D1CFA FF01560F
	v_mul_f32_dpp v143, v15, v143 row_newbcast:7 row_mask:0xf bank_mask:0xf// 000000006E98: 0B1F1EFA FF01570F
	v_mul_f32_e32 v144, v13, v144                              // 000000006EA0: 0B21210D
	v_mul_f32_e32 v145, v13, v145                              // 000000006EA4: 0B23230D
	v_mul_f32_e32 v146, v13, v146                              // 000000006EA8: 0B25250D
	v_mul_f32_e32 v147, v13, v147                              // 000000006EAC: 0B27270D
	v_mul_f32_dpp v144, v15, v144 row_newbcast:8 row_mask:0xf bank_mask:0xf// 000000006EB0: 0B2120FA FF01580F
	v_mul_f32_dpp v145, v15, v145 row_newbcast:9 row_mask:0xf bank_mask:0xf// 000000006EB8: 0B2322FA FF01590F
	v_mul_f32_dpp v146, v15, v146 row_newbcast:10 row_mask:0xf bank_mask:0xf// 000000006EC0: 0B2524FA FF015A0F
	v_mul_f32_dpp v147, v15, v147 row_newbcast:11 row_mask:0xf bank_mask:0xf// 000000006EC8: 0B2726FA FF015B0F
	v_mul_f32_e32 v148, v14, v148                              // 000000006ED0: 0B29290E
	v_mul_f32_e32 v149, v14, v149                              // 000000006ED4: 0B2B2B0E
	v_mul_f32_e32 v150, v14, v150                              // 000000006ED8: 0B2D2D0E
	v_mul_f32_e32 v151, v14, v151                              // 000000006EDC: 0B2F2F0E
	v_mul_f32_dpp v148, v15, v148 row_newbcast:8 row_mask:0xf bank_mask:0xf// 000000006EE0: 0B2928FA FF01580F
	v_mul_f32_dpp v149, v15, v149 row_newbcast:9 row_mask:0xf bank_mask:0xf// 000000006EE8: 0B2B2AFA FF01590F
	v_mul_f32_dpp v150, v15, v150 row_newbcast:10 row_mask:0xf bank_mask:0xf// 000000006EF0: 0B2D2CFA FF015A0F
	v_mul_f32_dpp v151, v15, v151 row_newbcast:11 row_mask:0xf bank_mask:0xf// 000000006EF8: 0B2F2EFA FF015B0F
	v_mul_f32_e32 v152, v13, v152                              // 000000006F00: 0B31310D
	v_mul_f32_e32 v153, v13, v153                              // 000000006F04: 0B33330D
	v_mul_f32_e32 v154, v13, v154                              // 000000006F08: 0B35350D
	v_mul_f32_e32 v155, v13, v155                              // 000000006F0C: 0B37370D
	v_mul_f32_dpp v152, v15, v152 row_newbcast:12 row_mask:0xf bank_mask:0xf// 000000006F10: 0B3130FA FF015C0F
	v_mul_f32_dpp v153, v15, v153 row_newbcast:13 row_mask:0xf bank_mask:0xf// 000000006F18: 0B3332FA FF015D0F
	v_mul_f32_dpp v154, v15, v154 row_newbcast:14 row_mask:0xf bank_mask:0xf// 000000006F20: 0B3534FA FF015E0F
	v_mul_f32_dpp v155, v15, v155 row_newbcast:15 row_mask:0xf bank_mask:0xf// 000000006F28: 0B3736FA FF015F0F
	v_mul_f32_e32 v156, v14, v156                              // 000000006F30: 0B39390E
	v_mul_f32_e32 v157, v14, v157                              // 000000006F34: 0B3B3B0E
	v_mul_f32_e32 v158, v14, v158                              // 000000006F38: 0B3D3D0E
	v_mul_f32_e32 v159, v14, v159                              // 000000006F3C: 0B3F3F0E
	v_mul_f32_dpp v156, v15, v156 row_newbcast:12 row_mask:0xf bank_mask:0xf// 000000006F40: 0B3938FA FF015C0F
	v_mul_f32_dpp v157, v15, v157 row_newbcast:13 row_mask:0xf bank_mask:0xf// 000000006F48: 0B3B3AFA FF015D0F
	v_mul_f32_dpp v158, v15, v158 row_newbcast:14 row_mask:0xf bank_mask:0xf// 000000006F50: 0B3D3CFA FF015E0F
	v_mul_f32_dpp v159, v15, v159 row_newbcast:15 row_mask:0xf bank_mask:0xf// 000000006F58: 0B3F3EFA FF015F0F
	v_mul_f32_e32 v64, v13, v64                                // 000000006F60: 0A80810D
	v_mul_f32_e32 v65, v13, v65                                // 000000006F64: 0A82830D
	v_mul_f32_e32 v66, v13, v66                                // 000000006F68: 0A84850D
	v_mul_f32_e32 v67, v13, v67                                // 000000006F6C: 0A86870D
	v_mul_f32_dpp v64, v44, v64 row_newbcast:0 row_mask:0xf bank_mask:0xf// 000000006F70: 0A8080FA FF01502C
	v_mul_f32_dpp v65, v44, v65 row_newbcast:1 row_mask:0xf bank_mask:0xf// 000000006F78: 0A8282FA FF01512C
	v_mul_f32_dpp v66, v44, v66 row_newbcast:2 row_mask:0xf bank_mask:0xf// 000000006F80: 0A8484FA FF01522C
	v_mul_f32_dpp v67, v44, v67 row_newbcast:3 row_mask:0xf bank_mask:0xf// 000000006F88: 0A8686FA FF01532C
	v_mul_f32_e32 v68, v14, v68                                // 000000006F90: 0A88890E
	v_mul_f32_e32 v69, v14, v69                                // 000000006F94: 0A8A8B0E
	v_mul_f32_e32 v70, v14, v70                                // 000000006F98: 0A8C8D0E
	v_mul_f32_e32 v71, v14, v71                                // 000000006F9C: 0A8E8F0E
	v_mul_f32_dpp v68, v44, v68 row_newbcast:0 row_mask:0xf bank_mask:0xf// 000000006FA0: 0A8888FA FF01502C
	v_mul_f32_dpp v69, v44, v69 row_newbcast:1 row_mask:0xf bank_mask:0xf// 000000006FA8: 0A8A8AFA FF01512C
	v_mul_f32_dpp v70, v44, v70 row_newbcast:2 row_mask:0xf bank_mask:0xf// 000000006FB0: 0A8C8CFA FF01522C
	v_mul_f32_dpp v71, v44, v71 row_newbcast:3 row_mask:0xf bank_mask:0xf// 000000006FB8: 0A8E8EFA FF01532C
	v_mul_f32_e32 v72, v13, v72                                // 000000006FC0: 0A90910D
	v_mul_f32_e32 v73, v13, v73                                // 000000006FC4: 0A92930D
	v_mul_f32_e32 v74, v13, v74                                // 000000006FC8: 0A94950D
	v_mul_f32_e32 v75, v13, v75                                // 000000006FCC: 0A96970D
	v_mul_f32_dpp v72, v44, v72 row_newbcast:4 row_mask:0xf bank_mask:0xf// 000000006FD0: 0A9090FA FF01542C
	v_mul_f32_dpp v73, v44, v73 row_newbcast:5 row_mask:0xf bank_mask:0xf// 000000006FD8: 0A9292FA FF01552C
	v_mul_f32_dpp v74, v44, v74 row_newbcast:6 row_mask:0xf bank_mask:0xf// 000000006FE0: 0A9494FA FF01562C
	v_mul_f32_dpp v75, v44, v75 row_newbcast:7 row_mask:0xf bank_mask:0xf// 000000006FE8: 0A9696FA FF01572C
	v_mul_f32_e32 v76, v14, v76                                // 000000006FF0: 0A98990E
	v_mul_f32_e32 v77, v14, v77                                // 000000006FF4: 0A9A9B0E
	v_mul_f32_e32 v78, v14, v78                                // 000000006FF8: 0A9C9D0E
	v_mul_f32_e32 v79, v14, v79                                // 000000006FFC: 0A9E9F0E
	v_mul_f32_dpp v76, v44, v76 row_newbcast:4 row_mask:0xf bank_mask:0xf// 000000007000: 0A9898FA FF01542C
	v_mul_f32_dpp v77, v44, v77 row_newbcast:5 row_mask:0xf bank_mask:0xf// 000000007008: 0A9A9AFA FF01552C
	v_mul_f32_dpp v78, v44, v78 row_newbcast:6 row_mask:0xf bank_mask:0xf// 000000007010: 0A9C9CFA FF01562C
	v_mul_f32_dpp v79, v44, v79 row_newbcast:7 row_mask:0xf bank_mask:0xf// 000000007018: 0A9E9EFA FF01572C
	v_mul_f32_e32 v80, v13, v80                                // 000000007020: 0AA0A10D
	v_mul_f32_e32 v81, v13, v81                                // 000000007024: 0AA2A30D
	v_mul_f32_e32 v82, v13, v82                                // 000000007028: 0AA4A50D
	v_mul_f32_e32 v83, v13, v83                                // 00000000702C: 0AA6A70D
	v_mul_f32_dpp v80, v44, v80 row_newbcast:8 row_mask:0xf bank_mask:0xf// 000000007030: 0AA0A0FA FF01582C
	v_mul_f32_dpp v81, v44, v81 row_newbcast:9 row_mask:0xf bank_mask:0xf// 000000007038: 0AA2A2FA FF01592C
	v_mul_f32_dpp v82, v44, v82 row_newbcast:10 row_mask:0xf bank_mask:0xf// 000000007040: 0AA4A4FA FF015A2C
	v_mul_f32_dpp v83, v44, v83 row_newbcast:11 row_mask:0xf bank_mask:0xf// 000000007048: 0AA6A6FA FF015B2C
	v_mul_f32_e32 v84, v14, v84                                // 000000007050: 0AA8A90E
	v_mul_f32_e32 v85, v14, v85                                // 000000007054: 0AAAAB0E
	v_mul_f32_e32 v86, v14, v86                                // 000000007058: 0AACAD0E
	v_mul_f32_e32 v87, v14, v87                                // 00000000705C: 0AAEAF0E
	v_mul_f32_dpp v84, v44, v84 row_newbcast:8 row_mask:0xf bank_mask:0xf// 000000007060: 0AA8A8FA FF01582C
	v_mul_f32_dpp v85, v44, v85 row_newbcast:9 row_mask:0xf bank_mask:0xf// 000000007068: 0AAAAAFA FF01592C
	v_mul_f32_dpp v86, v44, v86 row_newbcast:10 row_mask:0xf bank_mask:0xf// 000000007070: 0AACACFA FF015A2C
	v_mul_f32_dpp v87, v44, v87 row_newbcast:11 row_mask:0xf bank_mask:0xf// 000000007078: 0AAEAEFA FF015B2C
	v_mul_f32_e32 v88, v13, v88                                // 000000007080: 0AB0B10D
	v_mul_f32_e32 v89, v13, v89                                // 000000007084: 0AB2B30D
	v_mul_f32_e32 v90, v13, v90                                // 000000007088: 0AB4B50D
	v_mul_f32_e32 v91, v13, v91                                // 00000000708C: 0AB6B70D
	v_mul_f32_dpp v88, v44, v88 row_newbcast:12 row_mask:0xf bank_mask:0xf// 000000007090: 0AB0B0FA FF015C2C
	v_mul_f32_dpp v89, v44, v89 row_newbcast:13 row_mask:0xf bank_mask:0xf// 000000007098: 0AB2B2FA FF015D2C
	v_mul_f32_dpp v90, v44, v90 row_newbcast:14 row_mask:0xf bank_mask:0xf// 0000000070A0: 0AB4B4FA FF015E2C
	v_mul_f32_dpp v91, v44, v91 row_newbcast:15 row_mask:0xf bank_mask:0xf// 0000000070A8: 0AB6B6FA FF015F2C
	v_mul_f32_e32 v92, v14, v92                                // 0000000070B0: 0AB8B90E
	v_mul_f32_e32 v93, v14, v93                                // 0000000070B4: 0ABABB0E
	v_mul_f32_e32 v94, v14, v94                                // 0000000070B8: 0ABCBD0E
	v_mul_f32_e32 v95, v14, v95                                // 0000000070BC: 0ABEBF0E
	v_mul_f32_dpp v92, v44, v92 row_newbcast:12 row_mask:0xf bank_mask:0xf// 0000000070C0: 0AB8B8FA FF015C2C
	v_mul_f32_dpp v93, v44, v93 row_newbcast:13 row_mask:0xf bank_mask:0xf// 0000000070C8: 0ABABAFA FF015D2C
	v_mul_f32_dpp v94, v44, v94 row_newbcast:14 row_mask:0xf bank_mask:0xf// 0000000070D0: 0ABCBCFA FF015E2C
	v_mul_f32_dpp v95, v44, v95 row_newbcast:15 row_mask:0xf bank_mask:0xf// 0000000070D8: 0ABEBEFA FF015F2C
	s_waitcnt vmcnt(12)                                        // 0000000070E0: BF8C0F7C
	buffer_load_dwordx4 a[0:3], v36, s[12:15], 0 offen         // 0000000070E4: E05C1000 80830024
	v_mul_f32_e32 v46, v128, v128                              // 0000000070EC: 0A5D0180
	v_mul_f32_e32 v47, v129, v129                              // 0000000070F0: 0A5F0381
	v_mul_f32_e32 v48, v130, v130                              // 0000000070F4: 0A610582
	v_mul_f32_e32 v49, v131, v131                              // 0000000070F8: 0A630783
	v_fma_f32 v46, v46, s77, v1                                // 0000000070FC: D1CB002E 04049B2E
	v_fma_f32 v47, v47, s77, v1                                // 000000007104: D1CB002F 04049B2F
	v_fma_f32 v48, v48, s77, v1                                // 00000000710C: D1CB0030 04049B30
	v_fma_f32 v49, v49, s77, v1                                // 000000007114: D1CB0031 04049B31
	v_mul_f32_e32 v46, v46, v128                               // 00000000711C: 0A5D012E
	v_mul_f32_e32 v47, v47, v129                               // 000000007120: 0A5F032F
	v_mul_f32_e32 v48, v48, v130                               // 000000007124: 0A610530
	v_mul_f32_e32 v49, v49, v131                               // 000000007128: 0A630731
	v_mul_f32_e64 v46, v46, s6                                 // 00000000712C: D105002E 00000D2E
	v_mul_f32_e64 v47, v47, s6                                 // 000000007134: D105002F 00000D2F
	v_mul_f32_e64 v48, v48, s6                                 // 00000000713C: D1050030 00000D30
	v_mul_f32_e64 v49, v49, s6                                 // 000000007144: D1050031 00000D31
	v_exp_f32_e32 v46, v46                                     // 00000000714C: 7E5C412E
	v_exp_f32_e32 v47, v47                                     // 000000007150: 7E5E412F
	v_exp_f32_e32 v48, v48                                     // 000000007154: 7E604130
	v_exp_f32_e32 v49, v49                                     // 000000007158: 7E624131
	buffer_load_dwordx4 a[4:7], v37, s[12:15], 0 offen         // 00000000715C: E05C1000 80830425
	v_add_f32_e64 v46, v46, 1.0                                // 000000007164: D101002E 0001E52E
	v_add_f32_e64 v47, v47, 1.0                                // 00000000716C: D101002F 0001E52F
	v_add_f32_e64 v48, v48, 1.0                                // 000000007174: D1010030 0001E530
	v_add_f32_e64 v49, v49, 1.0                                // 00000000717C: D1010031 0001E531
	v_rcp_f32_e32 v46, v46                                     // 000000007184: 7E5C452E
	v_rcp_f32_e32 v47, v47                                     // 000000007188: 7E5E452F
	v_rcp_f32_e32 v48, v48                                     // 00000000718C: 7E604530
	v_rcp_f32_e32 v49, v49                                     // 000000007190: 7E624531
	v_mul_f32_e32 v128, v128, v46                              // 000000007194: 0B005D80
	v_mul_f32_e32 v129, v129, v47                              // 000000007198: 0B025F81
	v_mul_f32_e32 v130, v130, v48                              // 00000000719C: 0B046182
	v_mul_f32_e32 v131, v131, v49                              // 0000000071A0: 0B066383
	v_mul_f32_e32 v128, v128, v64                              // 0000000071A4: 0B008180
	v_mul_f32_e32 v129, v129, v65                              // 0000000071A8: 0B028381
	v_mul_f32_e32 v130, v130, v66                              // 0000000071AC: 0B048582
	v_mul_f32_e32 v131, v131, v67                              // 0000000071B0: 0B068783
	buffer_load_dwordx4 a[8:11], v38, s[12:15], 0 offen        // 0000000071B4: E05C1000 80830826
	v_mul_f32_e32 v46, v132, v132                              // 0000000071BC: 0A5D0984
	v_mul_f32_e32 v47, v133, v133                              // 0000000071C0: 0A5F0B85
	v_mul_f32_e32 v48, v134, v134                              // 0000000071C4: 0A610D86
	v_mul_f32_e32 v49, v135, v135                              // 0000000071C8: 0A630F87
	v_fma_f32 v46, v46, s77, v1                                // 0000000071CC: D1CB002E 04049B2E
	v_fma_f32 v47, v47, s77, v1                                // 0000000071D4: D1CB002F 04049B2F
	v_fma_f32 v48, v48, s77, v1                                // 0000000071DC: D1CB0030 04049B30
	v_fma_f32 v49, v49, s77, v1                                // 0000000071E4: D1CB0031 04049B31
	v_mul_f32_e32 v46, v46, v132                               // 0000000071EC: 0A5D092E
	v_mul_f32_e32 v47, v47, v133                               // 0000000071F0: 0A5F0B2F
	v_mul_f32_e32 v48, v48, v134                               // 0000000071F4: 0A610D30
	v_mul_f32_e32 v49, v49, v135                               // 0000000071F8: 0A630F31
	v_mul_f32_e64 v46, v46, s6                                 // 0000000071FC: D105002E 00000D2E
	v_mul_f32_e64 v47, v47, s6                                 // 000000007204: D105002F 00000D2F
	v_mul_f32_e64 v48, v48, s6                                 // 00000000720C: D1050030 00000D30
	v_mul_f32_e64 v49, v49, s6                                 // 000000007214: D1050031 00000D31
	v_exp_f32_e32 v46, v46                                     // 00000000721C: 7E5C412E
	v_exp_f32_e32 v47, v47                                     // 000000007220: 7E5E412F
	v_exp_f32_e32 v48, v48                                     // 000000007224: 7E604130
	v_exp_f32_e32 v49, v49                                     // 000000007228: 7E624131
	buffer_load_dwordx4 a[12:15], v39, s[12:15], 0 offen       // 00000000722C: E05C1000 80830C27
	s_add_u32 s12, s78, s12                                    // 000000007234: 800C0C4E
	s_addc_u32 s13, 0, s13                                     // 000000007238: 820D0D80
	v_add_f32_e64 v46, v46, 1.0                                // 00000000723C: D101002E 0001E52E
	v_add_f32_e64 v47, v47, 1.0                                // 000000007244: D101002F 0001E52F
	v_add_f32_e64 v48, v48, 1.0                                // 00000000724C: D1010030 0001E530
	v_add_f32_e64 v49, v49, 1.0                                // 000000007254: D1010031 0001E531
	v_rcp_f32_e32 v46, v46                                     // 00000000725C: 7E5C452E
	v_rcp_f32_e32 v47, v47                                     // 000000007260: 7E5E452F
	v_rcp_f32_e32 v48, v48                                     // 000000007264: 7E604530
	v_rcp_f32_e32 v49, v49                                     // 000000007268: 7E624531
	v_mul_f32_e32 v132, v132, v46                              // 00000000726C: 0B085D84
	v_mul_f32_e32 v133, v133, v47                              // 000000007270: 0B0A5F85
	v_mul_f32_e32 v134, v134, v48                              // 000000007274: 0B0C6186
	v_mul_f32_e32 v135, v135, v49                              // 000000007278: 0B0E6387
	v_mul_f32_e32 v132, v132, v68                              // 00000000727C: 0B088984
	v_mul_f32_e32 v133, v133, v69                              // 000000007280: 0B0A8B85
	v_mul_f32_e32 v134, v134, v70                              // 000000007284: 0B0C8D86
	v_mul_f32_e32 v135, v135, v71                              // 000000007288: 0B0E8F87
	s_waitcnt vmcnt(12)                                        // 00000000728C: BF8C0F7C
	buffer_load_dwordx4 a[16:19], v36, s[12:15], 0 offen       // 000000007290: E05C1000 80831024
	v_mul_f32_e32 v46, v136, v136                              // 000000007298: 0A5D1188
	v_mul_f32_e32 v47, v137, v137                              // 00000000729C: 0A5F1389
	v_mul_f32_e32 v48, v138, v138                              // 0000000072A0: 0A61158A
	v_mul_f32_e32 v49, v139, v139                              // 0000000072A4: 0A63178B
	v_fma_f32 v46, v46, s77, v1                                // 0000000072A8: D1CB002E 04049B2E
	v_fma_f32 v47, v47, s77, v1                                // 0000000072B0: D1CB002F 04049B2F
	v_fma_f32 v48, v48, s77, v1                                // 0000000072B8: D1CB0030 04049B30
	v_fma_f32 v49, v49, s77, v1                                // 0000000072C0: D1CB0031 04049B31
	v_mul_f32_e32 v46, v46, v136                               // 0000000072C8: 0A5D112E
	v_mul_f32_e32 v47, v47, v137                               // 0000000072CC: 0A5F132F
	v_mul_f32_e32 v48, v48, v138                               // 0000000072D0: 0A611530
	v_mul_f32_e32 v49, v49, v139                               // 0000000072D4: 0A631731
	v_mul_f32_e64 v46, v46, s6                                 // 0000000072D8: D105002E 00000D2E
	v_mul_f32_e64 v47, v47, s6                                 // 0000000072E0: D105002F 00000D2F
	v_mul_f32_e64 v48, v48, s6                                 // 0000000072E8: D1050030 00000D30
	v_mul_f32_e64 v49, v49, s6                                 // 0000000072F0: D1050031 00000D31
	v_exp_f32_e32 v46, v46                                     // 0000000072F8: 7E5C412E
	v_exp_f32_e32 v47, v47                                     // 0000000072FC: 7E5E412F
	v_exp_f32_e32 v48, v48                                     // 000000007300: 7E604130
	v_exp_f32_e32 v49, v49                                     // 000000007304: 7E624131
	buffer_load_dwordx4 a[20:23], v37, s[12:15], 0 offen       // 000000007308: E05C1000 80831425
	v_add_f32_e64 v46, v46, 1.0                                // 000000007310: D101002E 0001E52E
	v_add_f32_e64 v47, v47, 1.0                                // 000000007318: D101002F 0001E52F
	v_add_f32_e64 v48, v48, 1.0                                // 000000007320: D1010030 0001E530
	v_add_f32_e64 v49, v49, 1.0                                // 000000007328: D1010031 0001E531
	v_rcp_f32_e32 v46, v46                                     // 000000007330: 7E5C452E
	v_rcp_f32_e32 v47, v47                                     // 000000007334: 7E5E452F
	v_rcp_f32_e32 v48, v48                                     // 000000007338: 7E604530
	v_rcp_f32_e32 v49, v49                                     // 00000000733C: 7E624531
	v_mul_f32_e32 v136, v136, v46                              // 000000007340: 0B105D88
	v_mul_f32_e32 v137, v137, v47                              // 000000007344: 0B125F89
	v_mul_f32_e32 v138, v138, v48                              // 000000007348: 0B14618A
	v_mul_f32_e32 v139, v139, v49                              // 00000000734C: 0B16638B
	v_mul_f32_e32 v136, v136, v72                              // 000000007350: 0B109188
	v_mul_f32_e32 v137, v137, v73                              // 000000007354: 0B129389
	v_mul_f32_e32 v138, v138, v74                              // 000000007358: 0B14958A
	v_mul_f32_e32 v139, v139, v75                              // 00000000735C: 0B16978B
	buffer_load_dwordx4 a[24:27], v38, s[12:15], 0 offen       // 000000007360: E05C1000 80831826
	v_mul_f32_e32 v46, v140, v140                              // 000000007368: 0A5D198C
	v_mul_f32_e32 v47, v141, v141                              // 00000000736C: 0A5F1B8D
	v_mul_f32_e32 v48, v142, v142                              // 000000007370: 0A611D8E
	v_mul_f32_e32 v49, v143, v143                              // 000000007374: 0A631F8F
	v_fma_f32 v46, v46, s77, v1                                // 000000007378: D1CB002E 04049B2E
	v_fma_f32 v47, v47, s77, v1                                // 000000007380: D1CB002F 04049B2F
	v_fma_f32 v48, v48, s77, v1                                // 000000007388: D1CB0030 04049B30
	v_fma_f32 v49, v49, s77, v1                                // 000000007390: D1CB0031 04049B31
	v_mul_f32_e32 v46, v46, v140                               // 000000007398: 0A5D192E
	v_mul_f32_e32 v47, v47, v141                               // 00000000739C: 0A5F1B2F
	v_mul_f32_e32 v48, v48, v142                               // 0000000073A0: 0A611D30
	v_mul_f32_e32 v49, v49, v143                               // 0000000073A4: 0A631F31
	v_mul_f32_e64 v46, v46, s6                                 // 0000000073A8: D105002E 00000D2E
	v_mul_f32_e64 v47, v47, s6                                 // 0000000073B0: D105002F 00000D2F
	v_mul_f32_e64 v48, v48, s6                                 // 0000000073B8: D1050030 00000D30
	v_mul_f32_e64 v49, v49, s6                                 // 0000000073C0: D1050031 00000D31
	v_exp_f32_e32 v46, v46                                     // 0000000073C8: 7E5C412E
	v_exp_f32_e32 v47, v47                                     // 0000000073CC: 7E5E412F
	v_exp_f32_e32 v48, v48                                     // 0000000073D0: 7E604130
	v_exp_f32_e32 v49, v49                                     // 0000000073D4: 7E624131
	buffer_load_dwordx4 a[28:31], v39, s[12:15], 0 offen       // 0000000073D8: E05C1000 80831C27
	s_add_u32 s12, s78, s12                                    // 0000000073E0: 800C0C4E
	s_addc_u32 s13, 0, s13                                     // 0000000073E4: 820D0D80
	v_add_f32_e64 v46, v46, 1.0                                // 0000000073E8: D101002E 0001E52E
	v_add_f32_e64 v47, v47, 1.0                                // 0000000073F0: D101002F 0001E52F
	v_add_f32_e64 v48, v48, 1.0                                // 0000000073F8: D1010030 0001E530
	v_add_f32_e64 v49, v49, 1.0                                // 000000007400: D1010031 0001E531
	v_rcp_f32_e32 v46, v46                                     // 000000007408: 7E5C452E
	v_rcp_f32_e32 v47, v47                                     // 00000000740C: 7E5E452F
	v_rcp_f32_e32 v48, v48                                     // 000000007410: 7E604530
	v_rcp_f32_e32 v49, v49                                     // 000000007414: 7E624531
	v_mul_f32_e32 v140, v140, v46                              // 000000007418: 0B185D8C
	v_mul_f32_e32 v141, v141, v47                              // 00000000741C: 0B1A5F8D
	v_mul_f32_e32 v142, v142, v48                              // 000000007420: 0B1C618E
	v_mul_f32_e32 v143, v143, v49                              // 000000007424: 0B1E638F
	v_mul_f32_e32 v140, v140, v76                              // 000000007428: 0B18998C
	v_mul_f32_e32 v141, v141, v77                              // 00000000742C: 0B1A9B8D
	v_mul_f32_e32 v142, v142, v78                              // 000000007430: 0B1C9D8E
	v_mul_f32_e32 v143, v143, v79                              // 000000007434: 0B1E9F8F
	s_waitcnt vmcnt(12)                                        // 000000007438: BF8C0F7C
	buffer_load_dwordx4 a[32:35], v36, s[12:15], 0 offen       // 00000000743C: E05C1000 80832024
	v_mul_f32_e32 v46, v144, v144                              // 000000007444: 0A5D2190
	v_mul_f32_e32 v47, v145, v145                              // 000000007448: 0A5F2391
	v_mul_f32_e32 v48, v146, v146                              // 00000000744C: 0A612592
	v_mul_f32_e32 v49, v147, v147                              // 000000007450: 0A632793
	v_fma_f32 v46, v46, s77, v1                                // 000000007454: D1CB002E 04049B2E
	v_fma_f32 v47, v47, s77, v1                                // 00000000745C: D1CB002F 04049B2F
	v_fma_f32 v48, v48, s77, v1                                // 000000007464: D1CB0030 04049B30
	v_fma_f32 v49, v49, s77, v1                                // 00000000746C: D1CB0031 04049B31
	v_mul_f32_e32 v46, v46, v144                               // 000000007474: 0A5D212E
	v_mul_f32_e32 v47, v47, v145                               // 000000007478: 0A5F232F
	v_mul_f32_e32 v48, v48, v146                               // 00000000747C: 0A612530
	v_mul_f32_e32 v49, v49, v147                               // 000000007480: 0A632731
	v_mul_f32_e64 v46, v46, s6                                 // 000000007484: D105002E 00000D2E
	v_mul_f32_e64 v47, v47, s6                                 // 00000000748C: D105002F 00000D2F
	v_mul_f32_e64 v48, v48, s6                                 // 000000007494: D1050030 00000D30
	v_mul_f32_e64 v49, v49, s6                                 // 00000000749C: D1050031 00000D31
	v_exp_f32_e32 v46, v46                                     // 0000000074A4: 7E5C412E
	v_exp_f32_e32 v47, v47                                     // 0000000074A8: 7E5E412F
	v_exp_f32_e32 v48, v48                                     // 0000000074AC: 7E604130
	v_exp_f32_e32 v49, v49                                     // 0000000074B0: 7E624131
	buffer_load_dwordx4 a[36:39], v37, s[12:15], 0 offen       // 0000000074B4: E05C1000 80832425
	v_add_f32_e64 v46, v46, 1.0                                // 0000000074BC: D101002E 0001E52E
	v_add_f32_e64 v47, v47, 1.0                                // 0000000074C4: D101002F 0001E52F
	v_add_f32_e64 v48, v48, 1.0                                // 0000000074CC: D1010030 0001E530
	v_add_f32_e64 v49, v49, 1.0                                // 0000000074D4: D1010031 0001E531
	v_rcp_f32_e32 v46, v46                                     // 0000000074DC: 7E5C452E
	v_rcp_f32_e32 v47, v47                                     // 0000000074E0: 7E5E452F
	v_rcp_f32_e32 v48, v48                                     // 0000000074E4: 7E604530
	v_rcp_f32_e32 v49, v49                                     // 0000000074E8: 7E624531
	v_mul_f32_e32 v144, v144, v46                              // 0000000074EC: 0B205D90
	v_mul_f32_e32 v145, v145, v47                              // 0000000074F0: 0B225F91
	v_mul_f32_e32 v146, v146, v48                              // 0000000074F4: 0B246192
	v_mul_f32_e32 v147, v147, v49                              // 0000000074F8: 0B266393
	v_mul_f32_e32 v144, v144, v80                              // 0000000074FC: 0B20A190
	v_mul_f32_e32 v145, v145, v81                              // 000000007500: 0B22A391
	v_mul_f32_e32 v146, v146, v82                              // 000000007504: 0B24A592
	v_mul_f32_e32 v147, v147, v83                              // 000000007508: 0B26A793
	buffer_load_dwordx4 a[40:43], v38, s[12:15], 0 offen       // 00000000750C: E05C1000 80832826
	v_mul_f32_e32 v46, v148, v148                              // 000000007514: 0A5D2994
	v_mul_f32_e32 v47, v149, v149                              // 000000007518: 0A5F2B95
	v_mul_f32_e32 v48, v150, v150                              // 00000000751C: 0A612D96
	v_mul_f32_e32 v49, v151, v151                              // 000000007520: 0A632F97
	v_fma_f32 v46, v46, s77, v1                                // 000000007524: D1CB002E 04049B2E
	v_fma_f32 v47, v47, s77, v1                                // 00000000752C: D1CB002F 04049B2F
	v_fma_f32 v48, v48, s77, v1                                // 000000007534: D1CB0030 04049B30
	v_fma_f32 v49, v49, s77, v1                                // 00000000753C: D1CB0031 04049B31
	v_mul_f32_e32 v46, v46, v148                               // 000000007544: 0A5D292E
	v_mul_f32_e32 v47, v47, v149                               // 000000007548: 0A5F2B2F
	v_mul_f32_e32 v48, v48, v150                               // 00000000754C: 0A612D30
	v_mul_f32_e32 v49, v49, v151                               // 000000007550: 0A632F31
	v_mul_f32_e64 v46, v46, s6                                 // 000000007554: D105002E 00000D2E
	v_mul_f32_e64 v47, v47, s6                                 // 00000000755C: D105002F 00000D2F
	v_mul_f32_e64 v48, v48, s6                                 // 000000007564: D1050030 00000D30
	v_mul_f32_e64 v49, v49, s6                                 // 00000000756C: D1050031 00000D31
	v_exp_f32_e32 v46, v46                                     // 000000007574: 7E5C412E
	v_exp_f32_e32 v47, v47                                     // 000000007578: 7E5E412F
	v_exp_f32_e32 v48, v48                                     // 00000000757C: 7E604130
	v_exp_f32_e32 v49, v49                                     // 000000007580: 7E624131
	buffer_load_dwordx4 a[44:47], v39, s[12:15], 0 offen       // 000000007584: E05C1000 80832C27
	s_add_u32 s12, s78, s12                                    // 00000000758C: 800C0C4E
	s_addc_u32 s13, 0, s13                                     // 000000007590: 820D0D80
	v_add_f32_e64 v46, v46, 1.0                                // 000000007594: D101002E 0001E52E
	v_add_f32_e64 v47, v47, 1.0                                // 00000000759C: D101002F 0001E52F
	v_add_f32_e64 v48, v48, 1.0                                // 0000000075A4: D1010030 0001E530
	v_add_f32_e64 v49, v49, 1.0                                // 0000000075AC: D1010031 0001E531
	v_rcp_f32_e32 v46, v46                                     // 0000000075B4: 7E5C452E
	v_rcp_f32_e32 v47, v47                                     // 0000000075B8: 7E5E452F
	v_rcp_f32_e32 v48, v48                                     // 0000000075BC: 7E604530
	v_rcp_f32_e32 v49, v49                                     // 0000000075C0: 7E624531
	v_mul_f32_e32 v148, v148, v46                              // 0000000075C4: 0B285D94
	v_mul_f32_e32 v149, v149, v47                              // 0000000075C8: 0B2A5F95
	v_mul_f32_e32 v150, v150, v48                              // 0000000075CC: 0B2C6196
	v_mul_f32_e32 v151, v151, v49                              // 0000000075D0: 0B2E6397
	v_mul_f32_e32 v148, v148, v84                              // 0000000075D4: 0B28A994
	v_mul_f32_e32 v149, v149, v85                              // 0000000075D8: 0B2AAB95
	v_mul_f32_e32 v150, v150, v86                              // 0000000075DC: 0B2CAD96
	v_mul_f32_e32 v151, v151, v87                              // 0000000075E0: 0B2EAF97
	s_waitcnt vmcnt(12)                                        // 0000000075E4: BF8C0F7C
	buffer_load_dwordx4 a[48:51], v36, s[12:15], 0 offen       // 0000000075E8: E05C1000 80833024
	v_mul_f32_e32 v46, v152, v152                              // 0000000075F0: 0A5D3198
	v_mul_f32_e32 v47, v153, v153                              // 0000000075F4: 0A5F3399
	v_mul_f32_e32 v48, v154, v154                              // 0000000075F8: 0A61359A
	v_mul_f32_e32 v49, v155, v155                              // 0000000075FC: 0A63379B
	v_fma_f32 v46, v46, s77, v1                                // 000000007600: D1CB002E 04049B2E
	v_fma_f32 v47, v47, s77, v1                                // 000000007608: D1CB002F 04049B2F
	v_fma_f32 v48, v48, s77, v1                                // 000000007610: D1CB0030 04049B30
	v_fma_f32 v49, v49, s77, v1                                // 000000007618: D1CB0031 04049B31
	v_mul_f32_e32 v46, v46, v152                               // 000000007620: 0A5D312E
	v_mul_f32_e32 v47, v47, v153                               // 000000007624: 0A5F332F
	v_mul_f32_e32 v48, v48, v154                               // 000000007628: 0A613530
	v_mul_f32_e32 v49, v49, v155                               // 00000000762C: 0A633731
	v_mul_f32_e64 v46, v46, s6                                 // 000000007630: D105002E 00000D2E
	v_mul_f32_e64 v47, v47, s6                                 // 000000007638: D105002F 00000D2F
	v_mul_f32_e64 v48, v48, s6                                 // 000000007640: D1050030 00000D30
	v_mul_f32_e64 v49, v49, s6                                 // 000000007648: D1050031 00000D31
	v_exp_f32_e32 v46, v46                                     // 000000007650: 7E5C412E
	v_exp_f32_e32 v47, v47                                     // 000000007654: 7E5E412F
	v_exp_f32_e32 v48, v48                                     // 000000007658: 7E604130
	v_exp_f32_e32 v49, v49                                     // 00000000765C: 7E624131
	buffer_load_dwordx4 a[52:55], v37, s[12:15], 0 offen       // 000000007660: E05C1000 80833425
	v_add_f32_e64 v46, v46, 1.0                                // 000000007668: D101002E 0001E52E
	v_add_f32_e64 v47, v47, 1.0                                // 000000007670: D101002F 0001E52F
	v_add_f32_e64 v48, v48, 1.0                                // 000000007678: D1010030 0001E530
	v_add_f32_e64 v49, v49, 1.0                                // 000000007680: D1010031 0001E531
	v_rcp_f32_e32 v46, v46                                     // 000000007688: 7E5C452E
	v_rcp_f32_e32 v47, v47                                     // 00000000768C: 7E5E452F
	v_rcp_f32_e32 v48, v48                                     // 000000007690: 7E604530
	v_rcp_f32_e32 v49, v49                                     // 000000007694: 7E624531
	v_mul_f32_e32 v152, v152, v46                              // 000000007698: 0B305D98
	v_mul_f32_e32 v153, v153, v47                              // 00000000769C: 0B325F99
	v_mul_f32_e32 v154, v154, v48                              // 0000000076A0: 0B34619A
	v_mul_f32_e32 v155, v155, v49                              // 0000000076A4: 0B36639B
	v_mul_f32_e32 v152, v152, v88                              // 0000000076A8: 0B30B198
	v_mul_f32_e32 v153, v153, v89                              // 0000000076AC: 0B32B399
	v_mul_f32_e32 v154, v154, v90                              // 0000000076B0: 0B34B59A
	v_mul_f32_e32 v155, v155, v91                              // 0000000076B4: 0B36B79B
	buffer_load_dwordx4 a[56:59], v38, s[12:15], 0 offen       // 0000000076B8: E05C1000 80833826
	v_mul_f32_e32 v46, v156, v156                              // 0000000076C0: 0A5D399C
	v_mul_f32_e32 v47, v157, v157                              // 0000000076C4: 0A5F3B9D
	v_mul_f32_e32 v48, v158, v158                              // 0000000076C8: 0A613D9E
	v_mul_f32_e32 v49, v159, v159                              // 0000000076CC: 0A633F9F
	v_fma_f32 v46, v46, s77, v1                                // 0000000076D0: D1CB002E 04049B2E
	v_fma_f32 v47, v47, s77, v1                                // 0000000076D8: D1CB002F 04049B2F
	v_fma_f32 v48, v48, s77, v1                                // 0000000076E0: D1CB0030 04049B30
	v_fma_f32 v49, v49, s77, v1                                // 0000000076E8: D1CB0031 04049B31
	v_mul_f32_e32 v46, v46, v156                               // 0000000076F0: 0A5D392E
	v_mul_f32_e32 v47, v47, v157                               // 0000000076F4: 0A5F3B2F
	v_mul_f32_e32 v48, v48, v158                               // 0000000076F8: 0A613D30
	v_mul_f32_e32 v49, v49, v159                               // 0000000076FC: 0A633F31
	v_mul_f32_e64 v46, v46, s6                                 // 000000007700: D105002E 00000D2E
	v_mul_f32_e64 v47, v47, s6                                 // 000000007708: D105002F 00000D2F
	v_mul_f32_e64 v48, v48, s6                                 // 000000007710: D1050030 00000D30
	v_mul_f32_e64 v49, v49, s6                                 // 000000007718: D1050031 00000D31
	v_exp_f32_e32 v46, v46                                     // 000000007720: 7E5C412E
	v_exp_f32_e32 v47, v47                                     // 000000007724: 7E5E412F
	v_exp_f32_e32 v48, v48                                     // 000000007728: 7E604130
	v_exp_f32_e32 v49, v49                                     // 00000000772C: 7E624131
	buffer_load_dwordx4 a[60:63], v39, s[12:15], 0 offen       // 000000007730: E05C1000 80833C27
	v_add_f32_e64 v46, v46, 1.0                                // 000000007738: D101002E 0001E52E
	v_add_f32_e64 v47, v47, 1.0                                // 000000007740: D101002F 0001E52F
	v_add_f32_e64 v48, v48, 1.0                                // 000000007748: D1010030 0001E530
	v_add_f32_e64 v49, v49, 1.0                                // 000000007750: D1010031 0001E531
	v_rcp_f32_e32 v46, v46                                     // 000000007758: 7E5C452E
	v_rcp_f32_e32 v47, v47                                     // 00000000775C: 7E5E452F
	v_rcp_f32_e32 v48, v48                                     // 000000007760: 7E604530
	v_rcp_f32_e32 v49, v49                                     // 000000007764: 7E624531
	v_mul_f32_e32 v156, v156, v46                              // 000000007768: 0B385D9C
	v_mul_f32_e32 v157, v157, v47                              // 00000000776C: 0B3A5F9D
	v_mul_f32_e32 v158, v158, v48                              // 000000007770: 0B3C619E
	v_mul_f32_e32 v159, v159, v49                              // 000000007774: 0B3E639F
	v_mul_f32_e32 v156, v156, v92                              // 000000007778: 0B38B99C
	v_mul_f32_e32 v157, v157, v93                              // 00000000777C: 0B3ABB9D
	v_mul_f32_e32 v158, v158, v94                              // 000000007780: 0B3CBD9E
	v_mul_f32_e32 v159, v159, v95                              // 000000007784: 0B3EBF9F
	v_lshlrev_b32_e32 v46, 2, v0                               // 000000007788: 245C0082
	s_mul_i32 s60, s82, s71                                    // 00000000778C: 923C4752
	v_add_u32_e64 v80, v46, s60                                // 000000007790: D1340050 0000792E
	v_mov_b32_e32 v81, 0                                       // 000000007798: 7EA20280
	s_mul_i32 s60, s83, s71                                    // 00000000779C: 923C4753
	v_add_u32_e64 v82, v46, s60                                // 0000000077A0: D1340052 0000792E
	v_mov_b32_e32 v83, 0                                       // 0000000077A8: 7EA60280
	s_mul_i32 s60, s84, s71                                    // 0000000077AC: 923C4754
	v_add_u32_e64 v84, v46, s60                                // 0000000077B0: D1340054 0000792E
	v_mov_b32_e32 v85, 0                                       // 0000000077B8: 7EAA0280
	s_mul_i32 s60, s85, s71                                    // 0000000077BC: 923C4755
	v_add_u32_e64 v86, v46, s60                                // 0000000077C0: D1340056 0000792E
	v_mov_b32_e32 v87, 0                                       // 0000000077C8: 7EAE0280
	s_mul_i32 s60, s86, s71                                    // 0000000077CC: 923C4756
	v_add_u32_e64 v88, v46, s60                                // 0000000077D0: D1340058 0000792E
	v_mov_b32_e32 v89, 0                                       // 0000000077D8: 7EB20280
	s_mul_i32 s60, s87, s71                                    // 0000000077DC: 923C4757
	v_add_u32_e64 v90, v46, s60                                // 0000000077E0: D134005A 0000792E
	v_mov_b32_e32 v91, 0                                       // 0000000077E8: 7EB60280
	s_mul_i32 s60, s88, s71                                    // 0000000077EC: 923C4758
	v_add_u32_e64 v92, v46, s60                                // 0000000077F0: D134005C 0000792E
	v_mov_b32_e32 v93, 0                                       // 0000000077F8: 7EBA0280
	s_mul_i32 s60, s89, s71                                    // 0000000077FC: 923C4759
	v_add_u32_e64 v94, v46, s60                                // 000000007800: D134005E 0000792E
	v_mov_b32_e32 v95, 0                                       // 000000007808: 7EBE0280
	buffer_load_dword v11, v5, s[16:19], 0 offen               // 00000000780C: E0501000 80040B05
	v_mov_b32_e32 v20, 0x358637bd                              // 000000007814: 7E2802FF 358637BD
	v_mov_b32_e32 v21, 0x358637bd                              // 00000000781C: 7E2A02FF 358637BD
	v_max3_f32 v20, |v128|, |v129|, v20                        // 000000007824: D1D30314 04530380
	v_max3_f32 v20, |v130|, |v131|, v20                        // 00000000782C: D1D30314 04530782
	v_max3_f32 v21, |v132|, |v133|, v21                        // 000000007834: D1D30315 04570B84
	v_max3_f32 v21, |v134|, |v135|, v21                        // 00000000783C: D1D30315 04570F86
	v_max3_f32 v20, |v136|, |v137|, v20                        // 000000007844: D1D30314 04531388
	v_max3_f32 v20, |v138|, |v139|, v20                        // 00000000784C: D1D30314 0453178A
	v_max3_f32 v21, |v140|, |v141|, v21                        // 000000007854: D1D30315 04571B8C
	v_max3_f32 v21, |v142|, |v143|, v21                        // 00000000785C: D1D30315 04571F8E
	v_max3_f32 v20, |v144|, |v145|, v20                        // 000000007864: D1D30314 04532390
	v_max3_f32 v20, |v146|, |v147|, v20                        // 00000000786C: D1D30314 04532792
	v_max3_f32 v21, |v148|, |v149|, v21                        // 000000007874: D1D30315 04572B94
	v_max3_f32 v21, |v150|, |v151|, v21                        // 00000000787C: D1D30315 04572F96
	v_max3_f32 v20, |v152|, |v153|, v20                        // 000000007884: D1D30314 04533398
	v_max3_f32 v20, |v154|, |v155|, v20                        // 00000000788C: D1D30314 0453379A
	v_max3_f32 v21, |v156|, |v157|, v21                        // 000000007894: D1D30315 04573B9C
	v_max3_f32 v21, |v158|, |v159|, v21                        // 00000000789C: D1D30315 04573F9E
	v_lshlrev_b32_e32 v46, 3, v0                               // 0000000078A4: 245C0083
	s_mul_i32 s60, 0x200, s7                                   // 0000000078A8: 923C07FF 00000200
	v_add_u32_e32 v46, s60, v46                                // 0000000078B0: 685C5C3C
	ds_write_b64 v46, v[20:21] offset:16640                    // 0000000078B4: D89A4100 0000142E
	s_waitcnt lgkmcnt(0)                                       // 0000000078BC: BF8CC07F
	s_barrier                                                  // 0000000078C0: BF8A0000
	v_and_b32_e32 v46, 15, v0                                  // 0000000078C4: 265C008F
	v_lshlrev_b32_e32 v46, 3, v46                              // 0000000078C8: 245C5C83
	ds_read_b64 v[96:97], v46 offset:16640                     // 0000000078CC: D8EC4100 6000002E
	ds_read_b64 v[98:99], v46 offset:16768                     // 0000000078D4: D8EC4180 6200002E
	ds_read_b64 v[100:101], v46 offset:16896                   // 0000000078DC: D8EC4200 6400002E
	ds_read_b64 v[102:103], v46 offset:17024                   // 0000000078E4: D8EC4280 6600002E
	ds_read_b64 v[104:105], v46 offset:17152                   // 0000000078EC: D8EC4300 6800002E
	ds_read_b64 v[106:107], v46 offset:17280                   // 0000000078F4: D8EC4380 6A00002E
	ds_read_b64 v[108:109], v46 offset:17408                   // 0000000078FC: D8EC4400 6C00002E
	ds_read_b64 v[110:111], v46 offset:17536                   // 000000007904: D8EC4480 6E00002E
	ds_read_b64 v[112:113], v46 offset:17664                   // 00000000790C: D8EC4500 7000002E
	ds_read_b64 v[114:115], v46 offset:17792                   // 000000007914: D8EC4580 7200002E
	ds_read_b64 v[116:117], v46 offset:17920                   // 00000000791C: D8EC4600 7400002E
	ds_read_b64 v[118:119], v46 offset:18048                   // 000000007924: D8EC4680 7600002E
	ds_read_b64 v[120:121], v46 offset:18176                   // 00000000792C: D8EC4700 7800002E
	ds_read_b64 v[122:123], v46 offset:18304                   // 000000007934: D8EC4780 7A00002E
	ds_read_b64 v[124:125], v46 offset:18432                   // 00000000793C: D8EC4800 7C00002E
	ds_read_b64 v[126:127], v46 offset:18560                   // 000000007944: D8EC4880 7E00002E
	s_waitcnt lgkmcnt(0)                                       // 00000000794C: BF8CC07F
	v_max3_f32 v20, |v96|, |v98|, v20                          // 000000007950: D1D30314 0452C560
	v_max3_f32 v21, |v97|, |v99|, v21                          // 000000007958: D1D30315 0456C761
	v_max3_f32 v20, |v100|, |v102|, v20                        // 000000007960: D1D30314 0452CD64
	v_max3_f32 v21, |v101|, |v103|, v21                        // 000000007968: D1D30315 0456CF65
	v_max3_f32 v20, |v104|, |v106|, v20                        // 000000007970: D1D30314 0452D568
	v_max3_f32 v21, |v105|, |v107|, v21                        // 000000007978: D1D30315 0456D769
	v_max3_f32 v20, |v108|, |v110|, v20                        // 000000007980: D1D30314 0452DD6C
	v_max3_f32 v21, |v109|, |v111|, v21                        // 000000007988: D1D30315 0456DF6D
	v_max3_f32 v20, |v112|, |v114|, v20                        // 000000007990: D1D30314 0452E570
	v_max3_f32 v21, |v113|, |v115|, v21                        // 000000007998: D1D30315 0456E771
	v_max3_f32 v20, |v116|, |v118|, v20                        // 0000000079A0: D1D30314 0452ED74
	v_max3_f32 v21, |v117|, |v119|, v21                        // 0000000079A8: D1D30315 0456EF75
	v_max3_f32 v20, |v120|, |v122|, v20                        // 0000000079B0: D1D30314 0452F578
	v_max3_f32 v21, |v121|, |v123|, v21                        // 0000000079B8: D1D30315 0456F779
	v_max3_f32 v20, |v124|, |v126|, v20                        // 0000000079C0: D1D30314 0452FD7C
	v_max3_f32 v21, |v125|, |v127|, v21                        // 0000000079C8: D1D30315 0456FF7D
	v_rcp_f32_e32 v20, v20                                     // 0000000079D0: 7E284514
	v_rcp_f32_e32 v21, v21                                     // 0000000079D4: 7E2A4515
	v_mov_b32_e32 v46, 0x43e00000                              // 0000000079D8: 7E5C02FF 43E00000
	v_mul_f32_e32 v20, v46, v20                                // 0000000079E0: 0A28292E
	v_mul_f32_e32 v21, v46, v21                                // 0000000079E4: 0A2A2B2E
	v_mul_f32_e32 v128, v20, v128                              // 0000000079E8: 0B010114
	v_mul_f32_e32 v129, v20, v129                              // 0000000079EC: 0B030314
	v_mul_f32_e32 v130, v20, v130                              // 0000000079F0: 0B050514
	v_mul_f32_e32 v131, v20, v131                              // 0000000079F4: 0B070714
	v_cvt_pk_fp8_f32 v128, v128, v129                          // 0000000079F8: D2A20080 00030380
	v_cvt_pk_fp8_f32 v128, v130, v131 op_sel:[0,0,1]           // 000000007A00: D2A24080 00030782
	v_mul_f32_e32 v132, v21, v132                              // 000000007A08: 0B090915
	v_mul_f32_e32 v133, v21, v133                              // 000000007A0C: 0B0B0B15
	v_mul_f32_e32 v134, v21, v134                              // 000000007A10: 0B0D0D15
	v_mul_f32_e32 v135, v21, v135                              // 000000007A14: 0B0F0F15
	v_cvt_pk_fp8_f32 v129, v132, v133                          // 000000007A18: D2A20081 00030B84
	v_cvt_pk_fp8_f32 v129, v134, v135 op_sel:[0,0,1]           // 000000007A20: D2A24081 00030F86
	v_mul_f32_e32 v136, v20, v136                              // 000000007A28: 0B111114
	v_mul_f32_e32 v137, v20, v137                              // 000000007A2C: 0B131314
	v_mul_f32_e32 v138, v20, v138                              // 000000007A30: 0B151514
	v_mul_f32_e32 v139, v20, v139                              // 000000007A34: 0B171714
	v_cvt_pk_fp8_f32 v130, v136, v137                          // 000000007A38: D2A20082 00031388
	v_cvt_pk_fp8_f32 v130, v138, v139 op_sel:[0,0,1]           // 000000007A40: D2A24082 0003178A
	v_mul_f32_e32 v140, v21, v140                              // 000000007A48: 0B191915
	v_mul_f32_e32 v141, v21, v141                              // 000000007A4C: 0B1B1B15
	v_mul_f32_e32 v142, v21, v142                              // 000000007A50: 0B1D1D15
	v_mul_f32_e32 v143, v21, v143                              // 000000007A54: 0B1F1F15
	v_cvt_pk_fp8_f32 v131, v140, v141                          // 000000007A58: D2A20083 00031B8C
	v_cvt_pk_fp8_f32 v131, v142, v143 op_sel:[0,0,1]           // 000000007A60: D2A24083 00031F8E
	v_mul_f32_e32 v144, v20, v144                              // 000000007A68: 0B212114
	v_mul_f32_e32 v145, v20, v145                              // 000000007A6C: 0B232314
	v_mul_f32_e32 v146, v20, v146                              // 000000007A70: 0B252514
	v_mul_f32_e32 v147, v20, v147                              // 000000007A74: 0B272714
	v_cvt_pk_fp8_f32 v132, v144, v145                          // 000000007A78: D2A20084 00032390
	v_cvt_pk_fp8_f32 v132, v146, v147 op_sel:[0,0,1]           // 000000007A80: D2A24084 00032792
	v_mul_f32_e32 v148, v21, v148                              // 000000007A88: 0B292915
	v_mul_f32_e32 v149, v21, v149                              // 000000007A8C: 0B2B2B15
	v_mul_f32_e32 v150, v21, v150                              // 000000007A90: 0B2D2D15
	v_mul_f32_e32 v151, v21, v151                              // 000000007A94: 0B2F2F15
	v_cvt_pk_fp8_f32 v133, v148, v149                          // 000000007A98: D2A20085 00032B94
	v_cvt_pk_fp8_f32 v133, v150, v151 op_sel:[0,0,1]           // 000000007AA0: D2A24085 00032F96
	v_mul_f32_e32 v152, v20, v152                              // 000000007AA8: 0B313114
	v_mul_f32_e32 v153, v20, v153                              // 000000007AAC: 0B333314
	v_mul_f32_e32 v154, v20, v154                              // 000000007AB0: 0B353514
	v_mul_f32_e32 v155, v20, v155                              // 000000007AB4: 0B373714
	v_cvt_pk_fp8_f32 v134, v152, v153                          // 000000007AB8: D2A20086 00033398
	v_cvt_pk_fp8_f32 v134, v154, v155 op_sel:[0,0,1]           // 000000007AC0: D2A24086 0003379A
	v_mul_f32_e32 v156, v21, v156                              // 000000007AC8: 0B393915
	v_mul_f32_e32 v157, v21, v157                              // 000000007ACC: 0B3B3B15
	v_mul_f32_e32 v158, v21, v158                              // 000000007AD0: 0B3D3D15
	v_mul_f32_e32 v159, v21, v159                              // 000000007AD4: 0B3F3F15
	v_cvt_pk_fp8_f32 v135, v156, v157                          // 000000007AD8: D2A20087 00033B9C
	v_cvt_pk_fp8_f32 v135, v158, v159 op_sel:[0,0,1]           // 000000007AE0: D2A24087 00033F9E
	v_rcp_f32_e32 v22, v20                                     // 000000007AE8: 7E2C4514
	v_rcp_f32_e32 v23, v21                                     // 000000007AEC: 7E2E4515
	v_lshrrev_b32_e32 v46, 5, v0                               // 000000007AF0: 205C0085
	v_lshlrev_b32_e32 v47, 5, v46                              // 000000007AF4: 245E5C85
	v_and_b32_e32 v46, 31, v0                                  // 000000007AF8: 265C009F
	v_lshrrev_b32_e32 v48, 4, v46                              // 000000007AFC: 20605C84
	v_add_u32_e32 v47, v48, v47                                // 000000007B00: 685E5F30
	v_and_b32_e32 v46, 15, v0                                  // 000000007B04: 265C008F
	v_lshlrev_b32_e32 v46, 1, v46                              // 000000007B08: 245C5C81
	v_add_u32_e32 v47, v46, v47                                // 000000007B0C: 685E5F2E
	v_lshlrev_b32_e32 v46, 2, v47                              // 000000007B10: 245C5E82
	s_mul_i32 s60, 0x100, s7                                   // 000000007B14: 923C07FF 00000100
	v_add_u32_e64 v46, v46, s60                                // 000000007B1C: D134002E 0000792E
	ds_write_b32 v46, v128 offset:18688                        // 000000007B24: D81A4900 0000802E
	ds_write_b32 v46, v129 offset:22784                        // 000000007B2C: D81A5900 0000812E
	ds_write_b32 v46, v130 offset:19712                        // 000000007B34: D81A4D00 0000822E
	ds_write_b32 v46, v131 offset:23808                        // 000000007B3C: D81A5D00 0000832E
	ds_write_b32 v46, v132 offset:20736                        // 000000007B44: D81A5100 0000842E
	ds_write_b32 v46, v133 offset:24832                        // 000000007B4C: D81A6100 0000852E
	ds_write_b32 v46, v134 offset:21760                        // 000000007B54: D81A5500 0000862E
	ds_write_b32 v46, v135 offset:25856                        // 000000007B5C: D81A6500 0000872E
	s_waitcnt lgkmcnt(0)                                       // 000000007B64: BF8CC07F
	s_barrier                                                  // 000000007B68: BF8A0000
	v_lshrrev_b32_e32 v46, 4, v0                               // 000000007B6C: 205C0084
	v_lshlrev_b32_e32 v47, 6, v46                              // 000000007B70: 245E5C86
	v_and_b32_e32 v46, 15, v0                                  // 000000007B74: 265C008F
	v_lshlrev_b32_e32 v46, 1, v46                              // 000000007B78: 245C5C81
	v_add_u32_e32 v47, v46, v47                                // 000000007B7C: 685E5F2E
	v_lshlrev_b32_e32 v46, 2, v47                              // 000000007B80: 245C5E82
	ds_read_b64 v[128:129], v46 offset:18688                   // 000000007B84: D8EC4900 8000002E
	ds_read_b64 v[130:131], v46 offset:18816                   // 000000007B8C: D8EC4980 8200002E
	ds_read_b64 v[132:133], v46 offset:19712                   // 000000007B94: D8EC4D00 8400002E
	ds_read_b64 v[134:135], v46 offset:19840                   // 000000007B9C: D8EC4D80 8600002E
	ds_read_b64 v[136:137], v46 offset:20736                   // 000000007BA4: D8EC5100 8800002E
	ds_read_b64 v[138:139], v46 offset:20864                   // 000000007BAC: D8EC5180 8A00002E
	ds_read_b64 v[140:141], v46 offset:21760                   // 000000007BB4: D8EC5500 8C00002E
	ds_read_b64 v[142:143], v46 offset:21888                   // 000000007BBC: D8EC5580 8E00002E
	ds_read_b64 v[144:145], v46 offset:22784                   // 000000007BC4: D8EC5900 9000002E
	ds_read_b64 v[146:147], v46 offset:22912                   // 000000007BCC: D8EC5980 9200002E
	ds_read_b64 v[148:149], v46 offset:23808                   // 000000007BD4: D8EC5D00 9400002E
	ds_read_b64 v[150:151], v46 offset:23936                   // 000000007BDC: D8EC5D80 9600002E
	ds_read_b64 v[152:153], v46 offset:24832                   // 000000007BE4: D8EC6100 9800002E
	ds_read_b64 v[154:155], v46 offset:24960                   // 000000007BEC: D8EC6180 9A00002E
	ds_read_b64 v[156:157], v46 offset:25856                   // 000000007BF4: D8EC6500 9C00002E
	ds_read_b64 v[158:159], v46 offset:25984                   // 000000007BFC: D8EC6580 9E00002E
	s_add_u32 s12, s56, s12                                    // 000000007C04: 800C0C38
	s_addc_u32 s13, 0, s13                                     // 000000007C08: 820D0D80
	s_add_u32 s16, s79, s16                                    // 000000007C0C: 8010104F
	s_addc_u32 s17, 0, s17                                     // 000000007C10: 82111180
	s_waitcnt lgkmcnt(0)                                       // 000000007C14: BF8CC07F
	s_barrier                                                  // 000000007C18: BF8A0000
	v_mov_b32_e32 v160, 0                                      // 000000007C1C: 7F400280
	v_mov_b32_e32 v192, 0                                      // 000000007C20: 7F800280
	v_mov_b32_e32 v161, 0                                      // 000000007C24: 7F420280
	v_mov_b32_e32 v193, 0                                      // 000000007C28: 7F820280
	v_mov_b32_e32 v162, 0                                      // 000000007C2C: 7F440280
	v_mov_b32_e32 v194, 0                                      // 000000007C30: 7F840280
	v_mov_b32_e32 v163, 0                                      // 000000007C34: 7F460280
	v_mov_b32_e32 v195, 0                                      // 000000007C38: 7F860280
	v_mov_b32_e32 v164, 0                                      // 000000007C3C: 7F480280
	v_mov_b32_e32 v196, 0                                      // 000000007C40: 7F880280
	v_mov_b32_e32 v165, 0                                      // 000000007C44: 7F4A0280
	v_mov_b32_e32 v197, 0                                      // 000000007C48: 7F8A0280
	v_mov_b32_e32 v166, 0                                      // 000000007C4C: 7F4C0280
	v_mov_b32_e32 v198, 0                                      // 000000007C50: 7F8C0280
	v_mov_b32_e32 v167, 0                                      // 000000007C54: 7F4E0280
	v_mov_b32_e32 v199, 0                                      // 000000007C58: 7F8E0280
	v_mov_b32_e32 v168, 0                                      // 000000007C5C: 7F500280
	v_mov_b32_e32 v200, 0                                      // 000000007C60: 7F900280
	v_mov_b32_e32 v169, 0                                      // 000000007C64: 7F520280
	v_mov_b32_e32 v201, 0                                      // 000000007C68: 7F920280
	v_mov_b32_e32 v170, 0                                      // 000000007C6C: 7F540280
	v_mov_b32_e32 v202, 0                                      // 000000007C70: 7F940280
	v_mov_b32_e32 v171, 0                                      // 000000007C74: 7F560280
	v_mov_b32_e32 v203, 0                                      // 000000007C78: 7F960280
	v_mov_b32_e32 v172, 0                                      // 000000007C7C: 7F580280
	v_mov_b32_e32 v204, 0                                      // 000000007C80: 7F980280
	v_mov_b32_e32 v173, 0                                      // 000000007C84: 7F5A0280
	v_mov_b32_e32 v205, 0                                      // 000000007C88: 7F9A0280
	v_mov_b32_e32 v174, 0                                      // 000000007C8C: 7F5C0280
	v_mov_b32_e32 v206, 0                                      // 000000007C90: 7F9C0280
	v_mov_b32_e32 v175, 0                                      // 000000007C94: 7F5E0280
	v_mov_b32_e32 v207, 0                                      // 000000007C98: 7F9E0280
	ds_write_b64 v3, v[160:161] offset:18688                   // 000000007C9C: D89A4900 0000A003
	ds_write_b64 v3, v[162:163] offset:27392                   // 000000007CA4: D89A6B00 0000A203
	ds_write_b64 v3, v[164:165] offset:20864                   // 000000007CAC: D89A5180 0000A403
	ds_write_b64 v3, v[166:167] offset:29568                   // 000000007CB4: D89A7380 0000A603
	ds_write_b64 v3, v[168:169] offset:23040                   // 000000007CBC: D89A5A00 0000A803
	ds_write_b64 v3, v[170:171] offset:31744                   // 000000007CC4: D89A7C00 0000AA03
	ds_write_b64 v3, v[172:173] offset:25216                   // 000000007CCC: D89A6280 0000AC03
	ds_write_b64 v3, v[174:175] offset:33920                   // 000000007CD4: D89A8480 0000AE03
	s_mov_b32 s80, 0                                           // 000000007CDC: BED00080
	s_waitcnt vmcnt(0) expcnt(0) lgkmcnt(0)                    // 000000007CE0: BF8C0000

0000000000007ce4 <label_13B9>:
	s_waitcnt vmcnt(13) lgkmcnt(0)                             // 000000007CE4: BF8C007D
	s_barrier                                                  // 000000007CE8: BF8A0000
	v_mfma_f32_16x16x32_fp8_fp8 v[160:163], a[0:1], v[128:129], 0// 000000007CEC: D3F300A0 0A030100
	buffer_load_dwordx4 a[64:67], v36, s[12:15], 0 offen       // 000000007CF4: E05C1000 80834024
	v_mfma_f32_16x16x32_fp8_fp8 v[160:163], a[2:3], v[130:131], v[160:163]// 000000007CFC: D3F300A0 0E830502
	ds_read_b32 v64, v4 offset:18688                           // 000000007D04: D86C4900 40000004
	ds_read_b32 v65, v4 offset:23040                           // 000000007D0C: D86C5A00 41000004
	v_mfma_f32_16x16x32_fp8_fp8 v[164:167], a[0:1], v[144:145], 0// 000000007D14: D3F300A4 0A032100
	v_mfma_f32_16x16x32_fp8_fp8 v[164:167], a[2:3], v[146:147], v[164:167]// 000000007D1C: D3F300A4 0E932502
	ds_read_b32 v66, v4 offset:18720                           // 000000007D24: D86C4920 42000004
	ds_read_b32 v67, v4 offset:23072                           // 000000007D2C: D86C5A20 43000004
	v_mfma_f32_16x16x32_fp8_fp8 v[168:171], a[4:5], v[128:129], 0// 000000007D34: D3F300A8 0A030104
	buffer_load_dwordx4 a[68:71], v37, s[12:15], 0 offen       // 000000007D3C: E05C1000 80834425
	v_mfma_f32_16x16x32_fp8_fp8 v[168:171], a[6:7], v[130:131], v[168:171]// 000000007D44: D3F300A8 0EA30506
	ds_read_b32 v68, v4 offset:18752                           // 000000007D4C: D86C4940 44000004
	ds_read_b32 v69, v4 offset:23104                           // 000000007D54: D86C5A40 45000004
	v_mfma_f32_16x16x32_fp8_fp8 v[172:175], a[4:5], v[144:145], 0// 000000007D5C: D3F300AC 0A032104
	v_mfma_f32_16x16x32_fp8_fp8 v[172:175], a[6:7], v[146:147], v[172:175]// 000000007D64: D3F300AC 0EB32506
	ds_read_b32 v70, v4 offset:18784                           // 000000007D6C: D86C4960 46000004
	ds_read_b32 v71, v4 offset:23136                           // 000000007D74: D86C5A60 47000004
	v_mfma_f32_16x16x32_fp8_fp8 v[176:179], a[8:9], v[128:129], 0// 000000007D7C: D3F300B0 0A030108
	buffer_load_dwordx4 a[72:75], v38, s[12:15], 0 offen       // 000000007D84: E05C1000 80834826
	v_mfma_f32_16x16x32_fp8_fp8 v[176:179], a[10:11], v[130:131], v[176:179]// 000000007D8C: D3F300B0 0EC3050A
	ds_read_b32 v72, v4 offset:27392                           // 000000007D94: D86C6B00 48000004
	ds_read_b32 v73, v4 offset:31744                           // 000000007D9C: D86C7C00 49000004
	v_mfma_f32_16x16x32_fp8_fp8 v[180:183], a[8:9], v[144:145], 0// 000000007DA4: D3F300B4 0A032108
	v_mfma_f32_16x16x32_fp8_fp8 v[180:183], a[10:11], v[146:147], v[180:183]// 000000007DAC: D3F300B4 0ED3250A
	ds_read_b32 v74, v4 offset:27424                           // 000000007DB4: D86C6B20 4A000004
	ds_read_b32 v75, v4 offset:31776                           // 000000007DBC: D86C7C20 4B000004
	v_mfma_f32_16x16x32_fp8_fp8 v[184:187], a[12:13], v[128:129], 0// 000000007DC4: D3F300B8 0A03010C
	buffer_load_dwordx4 a[76:79], v39, s[12:15], 0 offen       // 000000007DCC: E05C1000 80834C27
	s_add_u32 s12, s78, s12                                    // 000000007DD4: 800C0C4E
	s_addc_u32 s13, 0, s13                                     // 000000007DD8: 820D0D80
	v_mfma_f32_16x16x32_fp8_fp8 v[184:187], a[14:15], v[130:131], v[184:187]// 000000007DDC: D3F300B8 0EE3050E
	ds_read_b32 v76, v4 offset:27456                           // 000000007DE4: D86C6B40 4C000004
	ds_read_b32 v77, v4 offset:31808                           // 000000007DEC: D86C7C40 4D000004
	v_mfma_f32_16x16x32_fp8_fp8 v[188:191], a[12:13], v[144:145], 0// 000000007DF4: D3F300BC 0A03210C
	v_mfma_f32_16x16x32_fp8_fp8 v[188:191], a[14:15], v[146:147], v[188:191]// 000000007DFC: D3F300BC 0EF3250E
	ds_read_b32 v78, v4 offset:27488                           // 000000007E04: D86C6B60 4E000004
	ds_read_b32 v79, v4 offset:31840                           // 000000007E0C: D86C7C60 4F000004
	s_waitcnt vmcnt(13)                                        // 000000007E14: BF8C0F7D
	v_mfma_f32_16x16x32_fp8_fp8 v[160:163], a[16:17], v[132:133], v[160:163]// 000000007E18: D3F300A0 0E830910
	buffer_load_dwordx4 a[80:83], v36, s[12:15], 0 offen       // 000000007E20: E05C1000 80835024
	v_mfma_f32_16x16x32_fp8_fp8 v[160:163], a[18:19], v[134:135], v[160:163]// 000000007E28: D3F300A0 0E830D12
	v_mfma_f32_16x16x32_fp8_fp8 v[164:167], a[16:17], v[148:149], v[164:167]// 000000007E30: D3F300A4 0E932910
	v_mfma_f32_16x16x32_fp8_fp8 v[164:167], a[18:19], v[150:151], v[164:167]// 000000007E38: D3F300A4 0E932D12
	v_mfma_f32_16x16x32_fp8_fp8 v[168:171], a[20:21], v[132:133], v[168:171]// 000000007E40: D3F300A8 0EA30914
	buffer_load_dwordx4 a[84:87], v37, s[12:15], 0 offen       // 000000007E48: E05C1000 80835425
	v_mfma_f32_16x16x32_fp8_fp8 v[168:171], a[22:23], v[134:135], v[168:171]// 000000007E50: D3F300A8 0EA30D16
	v_mfma_f32_16x16x32_fp8_fp8 v[172:175], a[20:21], v[148:149], v[172:175]// 000000007E58: D3F300AC 0EB32914
	v_mfma_f32_16x16x32_fp8_fp8 v[172:175], a[22:23], v[150:151], v[172:175]// 000000007E60: D3F300AC 0EB32D16
	v_mfma_f32_16x16x32_fp8_fp8 v[176:179], a[24:25], v[132:133], v[176:179]// 000000007E68: D3F300B0 0EC30918
	buffer_load_dwordx4 a[88:91], v38, s[12:15], 0 offen       // 000000007E70: E05C1000 80835826
	v_mfma_f32_16x16x32_fp8_fp8 v[176:179], a[26:27], v[134:135], v[176:179]// 000000007E78: D3F300B0 0EC30D1A
	v_mfma_f32_16x16x32_fp8_fp8 v[180:183], a[24:25], v[148:149], v[180:183]// 000000007E80: D3F300B4 0ED32918
	v_mfma_f32_16x16x32_fp8_fp8 v[180:183], a[26:27], v[150:151], v[180:183]// 000000007E88: D3F300B4 0ED32D1A
	v_mfma_f32_16x16x32_fp8_fp8 v[184:187], a[28:29], v[132:133], v[184:187]// 000000007E90: D3F300B8 0EE3091C
	buffer_load_dwordx4 a[92:95], v39, s[12:15], 0 offen       // 000000007E98: E05C1000 80835C27
	s_add_u32 s12, s78, s12                                    // 000000007EA0: 800C0C4E
	s_addc_u32 s13, 0, s13                                     // 000000007EA4: 820D0D80
	v_mfma_f32_16x16x32_fp8_fp8 v[184:187], a[30:31], v[134:135], v[184:187]// 000000007EA8: D3F300B8 0EE30D1E
	v_mfma_f32_16x16x32_fp8_fp8 v[188:191], a[28:29], v[148:149], v[188:191]// 000000007EB0: D3F300BC 0EF3291C
	v_mfma_f32_16x16x32_fp8_fp8 v[188:191], a[30:31], v[150:151], v[188:191]// 000000007EB8: D3F300BC 0EF32D1E
	s_waitcnt vmcnt(13)                                        // 000000007EC0: BF8C0F7D
	v_mfma_f32_16x16x32_fp8_fp8 v[160:163], a[32:33], v[136:137], v[160:163]// 000000007EC4: D3F300A0 0E831120
	buffer_load_dwordx4 a[96:99], v36, s[12:15], 0 offen       // 000000007ECC: E05C1000 80836024
	v_mfma_f32_16x16x32_fp8_fp8 v[160:163], a[34:35], v[138:139], v[160:163]// 000000007ED4: D3F300A0 0E831522
	ds_write_b64 v3, v[192:193] offset:36096                   // 000000007EDC: D89A8D00 0000C003
	v_mfma_f32_16x16x32_fp8_fp8 v[164:167], a[32:33], v[152:153], v[164:167]// 000000007EE4: D3F300A4 0E933120
	v_mfma_f32_16x16x32_fp8_fp8 v[164:167], a[34:35], v[154:155], v[164:167]// 000000007EEC: D3F300A4 0E933522
	ds_write_b64 v3, v[194:195] offset:44800                   // 000000007EF4: D89AAF00 0000C203
	v_mfma_f32_16x16x32_fp8_fp8 v[168:171], a[36:37], v[136:137], v[168:171]// 000000007EFC: D3F300A8 0EA31124
	buffer_load_dwordx4 a[100:103], v37, s[12:15], 0 offen     // 000000007F04: E05C1000 80836425
	v_mfma_f32_16x16x32_fp8_fp8 v[168:171], a[38:39], v[138:139], v[168:171]// 000000007F0C: D3F300A8 0EA31526
	ds_write_b64 v3, v[196:197] offset:38272                   // 000000007F14: D89A9580 0000C403
	v_mfma_f32_16x16x32_fp8_fp8 v[172:175], a[36:37], v[152:153], v[172:175]// 000000007F1C: D3F300AC 0EB33124
	v_mfma_f32_16x16x32_fp8_fp8 v[172:175], a[38:39], v[154:155], v[172:175]// 000000007F24: D3F300AC 0EB33526
	ds_write_b64 v3, v[198:199] offset:46976                   // 000000007F2C: D89AB780 0000C603
	v_mfma_f32_16x16x32_fp8_fp8 v[176:179], a[40:41], v[136:137], v[176:179]// 000000007F34: D3F300B0 0EC31128
	buffer_load_dwordx4 a[104:107], v38, s[12:15], 0 offen     // 000000007F3C: E05C1000 80836826
	v_mfma_f32_16x16x32_fp8_fp8 v[176:179], a[42:43], v[138:139], v[176:179]// 000000007F44: D3F300B0 0EC3152A
	ds_write_b64 v3, v[200:201] offset:40448                   // 000000007F4C: D89A9E00 0000C803
	v_mfma_f32_16x16x32_fp8_fp8 v[180:183], a[40:41], v[152:153], v[180:183]// 000000007F54: D3F300B4 0ED33128
	v_mfma_f32_16x16x32_fp8_fp8 v[180:183], a[42:43], v[154:155], v[180:183]// 000000007F5C: D3F300B4 0ED3352A
	ds_write_b64 v3, v[202:203] offset:49152                   // 000000007F64: D89AC000 0000CA03
	v_mfma_f32_16x16x32_fp8_fp8 v[184:187], a[44:45], v[136:137], v[184:187]// 000000007F6C: D3F300B8 0EE3112C
	buffer_load_dwordx4 a[108:111], v39, s[12:15], 0 offen     // 000000007F74: E05C1000 80836C27
	s_add_u32 s12, s78, s12                                    // 000000007F7C: 800C0C4E
	s_addc_u32 s13, 0, s13                                     // 000000007F80: 820D0D80
	v_mfma_f32_16x16x32_fp8_fp8 v[184:187], a[46:47], v[138:139], v[184:187]// 000000007F84: D3F300B8 0EE3152E
	ds_write_b64 v3, v[204:205] offset:42624                   // 000000007F8C: D89AA680 0000CC03
	v_mfma_f32_16x16x32_fp8_fp8 v[188:191], a[44:45], v[152:153], v[188:191]// 000000007F94: D3F300BC 0EF3312C
	v_mfma_f32_16x16x32_fp8_fp8 v[188:191], a[46:47], v[154:155], v[188:191]// 000000007F9C: D3F300BC 0EF3352E
	ds_write_b64 v3, v[206:207] offset:51328                   // 000000007FA4: D89AC880 0000CE03
	s_waitcnt vmcnt(12)                                        // 000000007FAC: BF8C0F7C
	v_mfma_f32_16x16x32_fp8_fp8 v[160:163], a[48:49], v[140:141], v[160:163]// 000000007FB0: D3F300A0 0E831930
	buffer_load_dwordx4 a[112:115], v36, s[12:15], 0 offen     // 000000007FB8: E05C1000 80837024
	v_mfma_f32_16x16x32_fp8_fp8 v[160:163], a[50:51], v[142:143], v[160:163]// 000000007FC0: D3F300A0 0E831D32
	v_mfma_f32_16x16x32_fp8_fp8 v[164:167], a[48:49], v[156:157], v[164:167]// 000000007FC8: D3F300A4 0E933930
	buffer_load_dword v12, v5, s[16:19], 0 offen               // 000000007FD0: E0501000 80040C05
	v_mfma_f32_16x16x32_fp8_fp8 v[164:167], a[50:51], v[158:159], v[164:167]// 000000007FD8: D3F300A4 0E933D32
	v_mfma_f32_16x16x32_fp8_fp8 v[168:171], a[52:53], v[140:141], v[168:171]// 000000007FE0: D3F300A8 0EA31934
	buffer_load_dwordx4 a[116:119], v37, s[12:15], 0 offen     // 000000007FE8: E05C1000 80837425
	v_mfma_f32_16x16x32_fp8_fp8 v[168:171], a[54:55], v[142:143], v[168:171]// 000000007FF0: D3F300A8 0EA31D36
	v_mfma_f32_16x16x32_fp8_fp8 v[172:175], a[52:53], v[156:157], v[172:175]// 000000007FF8: D3F300AC 0EB33934
	v_mfma_f32_16x16x32_fp8_fp8 v[172:175], a[54:55], v[158:159], v[172:175]// 000000008000: D3F300AC 0EB33D36
	v_mfma_f32_16x16x32_fp8_fp8 v[176:179], a[56:57], v[140:141], v[176:179]// 000000008008: D3F300B0 0EC31938
	buffer_load_dwordx4 a[120:123], v38, s[12:15], 0 offen     // 000000008010: E05C1000 80837826
	v_mfma_f32_16x16x32_fp8_fp8 v[176:179], a[58:59], v[142:143], v[176:179]// 000000008018: D3F300B0 0EC31D3A
	v_mfma_f32_16x16x32_fp8_fp8 v[180:183], a[56:57], v[156:157], v[180:183]// 000000008020: D3F300B4 0ED33938
	v_mfma_f32_16x16x32_fp8_fp8 v[180:183], a[58:59], v[158:159], v[180:183]// 000000008028: D3F300B4 0ED33D3A
	v_mfma_f32_16x16x32_fp8_fp8 v[184:187], a[60:61], v[140:141], v[184:187]// 000000008030: D3F300B8 0EE3193C
	buffer_load_dwordx4 a[124:127], v39, s[12:15], 0 offen     // 000000008038: E05C1000 80837C27
	v_mfma_f32_16x16x32_fp8_fp8 v[184:187], a[62:63], v[142:143], v[184:187]// 000000008040: D3F300B8 0EE31D3E
	v_mfma_f32_16x16x32_fp8_fp8 v[188:191], a[60:61], v[156:157], v[188:191]// 000000008048: D3F300BC 0EF3393C
	v_mfma_f32_16x16x32_fp8_fp8 v[188:191], a[62:63], v[158:159], v[188:191]// 000000008050: D3F300BC 0EF33D3E
	s_add_u32 s60, 0x200, s80                                  // 000000008058: 803C50FF 00000200
	s_cmp_lt_u32 s60, s81                                      // 000000008060: BF0A513C
	s_cselect_b32 s56, s56, 0                                  // 000000008064: 85388038
	s_cselect_b32 s78, s78, 0                                  // 000000008068: 854E804E
	s_cselect_b32 s79, s79, 0                                  // 00000000806C: 854F804F
	s_add_u32 s12, s56, s12                                    // 000000008070: 800C0C38
	s_addc_u32 s13, 0, s13                                     // 000000008074: 820D0D80
	s_add_u32 s16, s79, s16                                    // 000000008078: 8010104F
	s_addc_u32 s17, 0, s17                                     // 00000000807C: 82111180
	v_mul_f32_e32 v160, v22, v160                              // 000000008080: 0B414116
	v_mul_f32_e32 v161, v22, v161                              // 000000008084: 0B434316
	v_mul_f32_e32 v162, v22, v162                              // 000000008088: 0B454516
	v_mul_f32_e32 v163, v22, v163                              // 00000000808C: 0B474716
	v_mul_f32_dpp v160, v11, v160 row_newbcast:0 row_mask:0xf bank_mask:0xf// 000000008090: 0B4140FA FF01500B
	v_mul_f32_dpp v161, v11, v161 row_newbcast:1 row_mask:0xf bank_mask:0xf// 000000008098: 0B4342FA FF01510B
	v_mul_f32_dpp v162, v11, v162 row_newbcast:2 row_mask:0xf bank_mask:0xf// 0000000080A0: 0B4544FA FF01520B
	v_mul_f32_dpp v163, v11, v163 row_newbcast:3 row_mask:0xf bank_mask:0xf// 0000000080A8: 0B4746FA FF01530B
	v_mul_f32_e32 v160, v17, v160                              // 0000000080B0: 0B414111
	v_mul_f32_e32 v161, v17, v161                              // 0000000080B4: 0B434311
	v_mul_f32_e32 v162, v17, v162                              // 0000000080B8: 0B454511
	v_mul_f32_e32 v163, v17, v163                              // 0000000080BC: 0B474711
	v_mul_f32_e32 v164, v23, v164                              // 0000000080C0: 0B494917
	v_mul_f32_e32 v165, v23, v165                              // 0000000080C4: 0B4B4B17
	v_mul_f32_e32 v166, v23, v166                              // 0000000080C8: 0B4D4D17
	v_mul_f32_e32 v167, v23, v167                              // 0000000080CC: 0B4F4F17
	v_mul_f32_dpp v164, v11, v164 row_newbcast:0 row_mask:0xf bank_mask:0xf// 0000000080D0: 0B4948FA FF01500B
	v_mul_f32_dpp v165, v11, v165 row_newbcast:1 row_mask:0xf bank_mask:0xf// 0000000080D8: 0B4B4AFA FF01510B
	v_mul_f32_dpp v166, v11, v166 row_newbcast:2 row_mask:0xf bank_mask:0xf// 0000000080E0: 0B4D4CFA FF01520B
	v_mul_f32_dpp v167, v11, v167 row_newbcast:3 row_mask:0xf bank_mask:0xf// 0000000080E8: 0B4F4EFA FF01530B
	v_mul_f32_e32 v164, v18, v164                              // 0000000080F0: 0B494912
	v_mul_f32_e32 v165, v18, v165                              // 0000000080F4: 0B4B4B12
	v_mul_f32_e32 v166, v18, v166                              // 0000000080F8: 0B4D4D12
	v_mul_f32_e32 v167, v18, v167                              // 0000000080FC: 0B4F4F12
	v_mul_f32_e32 v168, v22, v168                              // 000000008100: 0B515116
	v_mul_f32_e32 v169, v22, v169                              // 000000008104: 0B535316
	v_mul_f32_e32 v170, v22, v170                              // 000000008108: 0B555516
	v_mul_f32_e32 v171, v22, v171                              // 00000000810C: 0B575716
	v_mul_f32_dpp v168, v11, v168 row_newbcast:4 row_mask:0xf bank_mask:0xf// 000000008110: 0B5150FA FF01540B
	v_mul_f32_dpp v169, v11, v169 row_newbcast:5 row_mask:0xf bank_mask:0xf// 000000008118: 0B5352FA FF01550B
	v_mul_f32_dpp v170, v11, v170 row_newbcast:6 row_mask:0xf bank_mask:0xf// 000000008120: 0B5554FA FF01560B
	v_mul_f32_dpp v171, v11, v171 row_newbcast:7 row_mask:0xf bank_mask:0xf// 000000008128: 0B5756FA FF01570B
	v_mul_f32_e32 v168, v17, v168                              // 000000008130: 0B515111
	v_mul_f32_e32 v169, v17, v169                              // 000000008134: 0B535311
	v_mul_f32_e32 v170, v17, v170                              // 000000008138: 0B555511
	v_mul_f32_e32 v171, v17, v171                              // 00000000813C: 0B575711
	v_mul_f32_e32 v172, v23, v172                              // 000000008140: 0B595917
	v_mul_f32_e32 v173, v23, v173                              // 000000008144: 0B5B5B17
	v_mul_f32_e32 v174, v23, v174                              // 000000008148: 0B5D5D17
	v_mul_f32_e32 v175, v23, v175                              // 00000000814C: 0B5F5F17
	v_mul_f32_dpp v172, v11, v172 row_newbcast:4 row_mask:0xf bank_mask:0xf// 000000008150: 0B5958FA FF01540B
	v_mul_f32_dpp v173, v11, v173 row_newbcast:5 row_mask:0xf bank_mask:0xf// 000000008158: 0B5B5AFA FF01550B
	v_mul_f32_dpp v174, v11, v174 row_newbcast:6 row_mask:0xf bank_mask:0xf// 000000008160: 0B5D5CFA FF01560B
	v_mul_f32_dpp v175, v11, v175 row_newbcast:7 row_mask:0xf bank_mask:0xf// 000000008168: 0B5F5EFA FF01570B
	v_mul_f32_e32 v172, v18, v172                              // 000000008170: 0B595912
	v_mul_f32_e32 v173, v18, v173                              // 000000008174: 0B5B5B12
	v_mul_f32_e32 v174, v18, v174                              // 000000008178: 0B5D5D12
	v_mul_f32_e32 v175, v18, v175                              // 00000000817C: 0B5F5F12
	v_mul_f32_e32 v176, v22, v176                              // 000000008180: 0B616116
	v_mul_f32_e32 v177, v22, v177                              // 000000008184: 0B636316
	v_mul_f32_e32 v178, v22, v178                              // 000000008188: 0B656516
	v_mul_f32_e32 v179, v22, v179                              // 00000000818C: 0B676716
	v_mul_f32_dpp v176, v11, v176 row_newbcast:8 row_mask:0xf bank_mask:0xf// 000000008190: 0B6160FA FF01580B
	v_mul_f32_dpp v177, v11, v177 row_newbcast:9 row_mask:0xf bank_mask:0xf// 000000008198: 0B6362FA FF01590B
	v_mul_f32_dpp v178, v11, v178 row_newbcast:10 row_mask:0xf bank_mask:0xf// 0000000081A0: 0B6564FA FF015A0B
	v_mul_f32_dpp v179, v11, v179 row_newbcast:11 row_mask:0xf bank_mask:0xf// 0000000081A8: 0B6766FA FF015B0B
	v_mul_f32_e32 v176, v17, v176                              // 0000000081B0: 0B616111
	v_mul_f32_e32 v177, v17, v177                              // 0000000081B4: 0B636311
	v_mul_f32_e32 v178, v17, v178                              // 0000000081B8: 0B656511
	v_mul_f32_e32 v179, v17, v179                              // 0000000081BC: 0B676711
	v_mul_f32_e32 v180, v23, v180                              // 0000000081C0: 0B696917
	v_mul_f32_e32 v181, v23, v181                              // 0000000081C4: 0B6B6B17
	v_mul_f32_e32 v182, v23, v182                              // 0000000081C8: 0B6D6D17
	v_mul_f32_e32 v183, v23, v183                              // 0000000081CC: 0B6F6F17
	v_mul_f32_dpp v180, v11, v180 row_newbcast:8 row_mask:0xf bank_mask:0xf// 0000000081D0: 0B6968FA FF01580B
	v_mul_f32_dpp v181, v11, v181 row_newbcast:9 row_mask:0xf bank_mask:0xf// 0000000081D8: 0B6B6AFA FF01590B
	v_mul_f32_dpp v182, v11, v182 row_newbcast:10 row_mask:0xf bank_mask:0xf// 0000000081E0: 0B6D6CFA FF015A0B
	v_mul_f32_dpp v183, v11, v183 row_newbcast:11 row_mask:0xf bank_mask:0xf// 0000000081E8: 0B6F6EFA FF015B0B
	v_mul_f32_e32 v180, v18, v180                              // 0000000081F0: 0B696912
	v_mul_f32_e32 v181, v18, v181                              // 0000000081F4: 0B6B6B12
	v_mul_f32_e32 v182, v18, v182                              // 0000000081F8: 0B6D6D12
	v_mul_f32_e32 v183, v18, v183                              // 0000000081FC: 0B6F6F12
	v_mul_f32_e32 v184, v22, v184                              // 000000008200: 0B717116
	v_mul_f32_e32 v185, v22, v185                              // 000000008204: 0B737316
	v_mul_f32_e32 v186, v22, v186                              // 000000008208: 0B757516
	v_mul_f32_e32 v187, v22, v187                              // 00000000820C: 0B777716
	v_mul_f32_dpp v184, v11, v184 row_newbcast:12 row_mask:0xf bank_mask:0xf// 000000008210: 0B7170FA FF015C0B
	v_mul_f32_dpp v185, v11, v185 row_newbcast:13 row_mask:0xf bank_mask:0xf// 000000008218: 0B7372FA FF015D0B
	v_mul_f32_dpp v186, v11, v186 row_newbcast:14 row_mask:0xf bank_mask:0xf// 000000008220: 0B7574FA FF015E0B
	v_mul_f32_dpp v187, v11, v187 row_newbcast:15 row_mask:0xf bank_mask:0xf// 000000008228: 0B7776FA FF015F0B
	v_mul_f32_e32 v184, v17, v184                              // 000000008230: 0B717111
	v_mul_f32_e32 v185, v17, v185                              // 000000008234: 0B737311
	v_mul_f32_e32 v186, v17, v186                              // 000000008238: 0B757511
	v_mul_f32_e32 v187, v17, v187                              // 00000000823C: 0B777711
	v_mul_f32_e32 v188, v23, v188                              // 000000008240: 0B797917
	v_mul_f32_e32 v189, v23, v189                              // 000000008244: 0B7B7B17
	v_mul_f32_e32 v190, v23, v190                              // 000000008248: 0B7D7D17
	v_mul_f32_e32 v191, v23, v191                              // 00000000824C: 0B7F7F17
	v_mul_f32_dpp v188, v11, v188 row_newbcast:12 row_mask:0xf bank_mask:0xf// 000000008250: 0B7978FA FF015C0B
	v_mul_f32_dpp v189, v11, v189 row_newbcast:13 row_mask:0xf bank_mask:0xf// 000000008258: 0B7B7AFA FF015D0B
	v_mul_f32_dpp v190, v11, v190 row_newbcast:14 row_mask:0xf bank_mask:0xf// 000000008260: 0B7D7CFA FF015E0B
	v_mul_f32_dpp v191, v11, v191 row_newbcast:15 row_mask:0xf bank_mask:0xf// 000000008268: 0B7F7EFA FF015F0B
	v_mul_f32_e32 v188, v18, v188                              // 000000008270: 0B797912
	v_mul_f32_e32 v189, v18, v189                              // 000000008274: 0B7B7B12
	v_mul_f32_e32 v190, v18, v190                              // 000000008278: 0B7D7D12
	v_mul_f32_e32 v191, v18, v191                              // 00000000827C: 0B7F7F12
	v_cvt_pkrtz_f16_f32 v160, v160, v161                       // 000000008280: D29600A0 000343A0
	v_cvt_pkrtz_f16_f32 v161, v162, v163                       // 000000008288: D29600A1 000347A2
	v_cvt_pkrtz_f16_f32 v162, v164, v165                       // 000000008290: D29600A2 00034BA4
	v_cvt_pkrtz_f16_f32 v163, v166, v167                       // 000000008298: D29600A3 00034FA6
	v_cvt_pkrtz_f16_f32 v164, v168, v169                       // 0000000082A0: D29600A4 000353A8
	v_cvt_pkrtz_f16_f32 v165, v170, v171                       // 0000000082A8: D29600A5 000357AA
	v_cvt_pkrtz_f16_f32 v166, v172, v173                       // 0000000082B0: D29600A6 00035BAC
	v_cvt_pkrtz_f16_f32 v167, v174, v175                       // 0000000082B8: D29600A7 00035FAE
	v_cvt_pkrtz_f16_f32 v168, v176, v177                       // 0000000082C0: D29600A8 000363B0
	v_cvt_pkrtz_f16_f32 v169, v178, v179                       // 0000000082C8: D29600A9 000367B2
	v_cvt_pkrtz_f16_f32 v170, v180, v181                       // 0000000082D0: D29600AA 00036BB4
	v_cvt_pkrtz_f16_f32 v171, v182, v183                       // 0000000082D8: D29600AB 00036FB6
	v_cvt_pkrtz_f16_f32 v172, v184, v185                       // 0000000082E0: D29600AC 000373B8
	v_cvt_pkrtz_f16_f32 v173, v186, v187                       // 0000000082E8: D29600AD 000377BA
	v_cvt_pkrtz_f16_f32 v174, v188, v189                       // 0000000082F0: D29600AE 00037BBC
	v_cvt_pkrtz_f16_f32 v175, v190, v191                       // 0000000082F8: D29600AF 00037FBE
	s_cmp_ge_u32 s80, 0x200                                    // 000000008300: BF09FF50 00000200
	s_cselect_b32 s59, 0x200, s59                              // 000000008308: 853B3BFF 00000200
	s_setvskip s20, 0                                          // 000000008310: BF108014
	global_atomic_pk_add_f16 v80, v64, s[8:9]                  // 000000008314: DD388000 00084050
	s_setvskip 0, 0                                            // 00000000831C: BF108080
	s_setvskip s20, 0                                          // 000000008320: BF108014
	global_atomic_pk_add_f16 v80, v65, s[8:9] offset:256       // 000000008324: DD388100 00084150
	s_setvskip 0, 0                                            // 00000000832C: BF108080
	s_setvskip s20, 1                                          // 000000008330: BF108114
	global_atomic_pk_add_f16 v82, v66, s[8:9]                  // 000000008334: DD388000 00084252
	s_setvskip 0, 0                                            // 00000000833C: BF108080
	s_setvskip s20, 1                                          // 000000008340: BF108114
	global_atomic_pk_add_f16 v82, v67, s[8:9] offset:256       // 000000008344: DD388100 00084352
	s_setvskip 0, 0                                            // 00000000834C: BF108080
	s_setvskip s20, 2                                          // 000000008350: BF108214
	global_atomic_pk_add_f16 v84, v68, s[8:9]                  // 000000008354: DD388000 00084454
	s_setvskip 0, 0                                            // 00000000835C: BF108080
	s_setvskip s20, 2                                          // 000000008360: BF108214
	global_atomic_pk_add_f16 v84, v69, s[8:9] offset:256       // 000000008364: DD388100 00084554
	s_setvskip 0, 0                                            // 00000000836C: BF108080
	s_setvskip s20, 3                                          // 000000008370: BF108314
	global_atomic_pk_add_f16 v86, v70, s[8:9]                  // 000000008374: DD388000 00084656
	s_setvskip 0, 0                                            // 00000000837C: BF108080
	s_setvskip s20, 3                                          // 000000008380: BF108314
	global_atomic_pk_add_f16 v86, v71, s[8:9] offset:256       // 000000008384: DD388100 00084756
	s_setvskip 0, 0                                            // 00000000838C: BF108080
	s_setvskip s20, 4                                          // 000000008390: BF108414
	global_atomic_pk_add_f16 v88, v72, s[8:9]                  // 000000008394: DD388000 00084858
	s_setvskip 0, 0                                            // 00000000839C: BF108080
	s_setvskip s20, 4                                          // 0000000083A0: BF108414
	global_atomic_pk_add_f16 v88, v73, s[8:9] offset:256       // 0000000083A4: DD388100 00084958
	s_setvskip 0, 0                                            // 0000000083AC: BF108080
	s_setvskip s20, 5                                          // 0000000083B0: BF108514
	global_atomic_pk_add_f16 v90, v74, s[8:9]                  // 0000000083B4: DD388000 00084A5A
	s_setvskip 0, 0                                            // 0000000083BC: BF108080
	s_setvskip s20, 5                                          // 0000000083C0: BF108514
	global_atomic_pk_add_f16 v90, v75, s[8:9] offset:256       // 0000000083C4: DD388100 00084B5A
	s_setvskip 0, 0                                            // 0000000083CC: BF108080
	s_setvskip s20, 6                                          // 0000000083D0: BF108614
	global_atomic_pk_add_f16 v92, v76, s[8:9]                  // 0000000083D4: DD388000 00084C5C
	s_setvskip 0, 0                                            // 0000000083DC: BF108080
	s_setvskip s20, 6                                          // 0000000083E0: BF108614
	global_atomic_pk_add_f16 v92, v77, s[8:9] offset:256       // 0000000083E4: DD388100 00084D5C
	s_setvskip 0, 0                                            // 0000000083EC: BF108080
	s_setvskip s20, 7                                          // 0000000083F0: BF108714
	global_atomic_pk_add_f16 v94, v78, s[8:9]                  // 0000000083F4: DD388000 00084E5E
	s_setvskip 0, 0                                            // 0000000083FC: BF108080
	s_setvskip s20, 7                                          // 000000008400: BF108714
	global_atomic_pk_add_f16 v94, v79, s[8:9] offset:256       // 000000008404: DD388100 00084F5E
	s_setvskip 0, 0                                            // 00000000840C: BF108080
	s_add_u32 s8, s59, s8                                      // 000000008410: 8008083B
	s_addc_u32 s9, 0, s9                                       // 000000008414: 82090980
	s_addk_i32 s80, 0x100                                      // 000000008418: B7500100
	s_cmp_lt_i32 s80, s81                                      // 00000000841C: BF045150
	s_cbranch_scc0 label_0CCB                                  // 000000008420: BF84F742
	s_waitcnt vmcnt(13) lgkmcnt(0)                             // 000000008424: BF8C007D
	s_barrier                                                  // 000000008428: BF8A0000
	v_mfma_f32_16x16x32_fp8_fp8 v[192:195], a[64:65], v[128:129], 0// 00000000842C: D3F300C0 0A030140
	buffer_load_dwordx4 a[0:3], v36, s[12:15], 0 offen         // 000000008434: E05C1000 80830024
	v_mfma_f32_16x16x32_fp8_fp8 v[192:195], a[66:67], v[130:131], v[192:195]// 00000000843C: D3F300C0 0F030542
	ds_read_b32 v64, v4 offset:36096                           // 000000008444: D86C8D00 40000004
	ds_read_b32 v65, v4 offset:40448                           // 00000000844C: D86C9E00 41000004
	v_mfma_f32_16x16x32_fp8_fp8 v[196:199], a[64:65], v[144:145], 0// 000000008454: D3F300C4 0A032140
	v_mfma_f32_16x16x32_fp8_fp8 v[196:199], a[66:67], v[146:147], v[196:199]// 00000000845C: D3F300C4 0F132542
	ds_read_b32 v66, v4 offset:36128                           // 000000008464: D86C8D20 42000004
	ds_read_b32 v67, v4 offset:40480                           // 00000000846C: D86C9E20 43000004
	v_mfma_f32_16x16x32_fp8_fp8 v[200:203], a[68:69], v[128:129], 0// 000000008474: D3F300C8 0A030144
	buffer_load_dwordx4 a[4:7], v37, s[12:15], 0 offen         // 00000000847C: E05C1000 80830425
	v_mfma_f32_16x16x32_fp8_fp8 v[200:203], a[70:71], v[130:131], v[200:203]// 000000008484: D3F300C8 0F230546
	ds_read_b32 v68, v4 offset:36160                           // 00000000848C: D86C8D40 44000004
	ds_read_b32 v69, v4 offset:40512                           // 000000008494: D86C9E40 45000004
	v_mfma_f32_16x16x32_fp8_fp8 v[204:207], a[68:69], v[144:145], 0// 00000000849C: D3F300CC 0A032144
	v_mfma_f32_16x16x32_fp8_fp8 v[204:207], a[70:71], v[146:147], v[204:207]// 0000000084A4: D3F300CC 0F332546
	ds_read_b32 v70, v4 offset:36192                           // 0000000084AC: D86C8D60 46000004
	ds_read_b32 v71, v4 offset:40544                           // 0000000084B4: D86C9E60 47000004
	v_mfma_f32_16x16x32_fp8_fp8 v[208:211], a[72:73], v[128:129], 0// 0000000084BC: D3F300D0 0A030148
	buffer_load_dwordx4 a[8:11], v38, s[12:15], 0 offen        // 0000000084C4: E05C1000 80830826
	v_mfma_f32_16x16x32_fp8_fp8 v[208:211], a[74:75], v[130:131], v[208:211]// 0000000084CC: D3F300D0 0F43054A
	ds_read_b32 v72, v4 offset:44800                           // 0000000084D4: D86CAF00 48000004
	ds_read_b32 v73, v4 offset:49152                           // 0000000084DC: D86CC000 49000004
	v_mfma_f32_16x16x32_fp8_fp8 v[212:215], a[72:73], v[144:145], 0// 0000000084E4: D3F300D4 0A032148
	v_mfma_f32_16x16x32_fp8_fp8 v[212:215], a[74:75], v[146:147], v[212:215]// 0000000084EC: D3F300D4 0F53254A
	ds_read_b32 v74, v4 offset:44832                           // 0000000084F4: D86CAF20 4A000004
	ds_read_b32 v75, v4 offset:49184                           // 0000000084FC: D86CC020 4B000004
	v_mfma_f32_16x16x32_fp8_fp8 v[216:219], a[76:77], v[128:129], 0// 000000008504: D3F300D8 0A03014C
	buffer_load_dwordx4 a[12:15], v39, s[12:15], 0 offen       // 00000000850C: E05C1000 80830C27
	s_add_u32 s12, s78, s12                                    // 000000008514: 800C0C4E
	s_addc_u32 s13, 0, s13                                     // 000000008518: 820D0D80
	v_mfma_f32_16x16x32_fp8_fp8 v[216:219], a[78:79], v[130:131], v[216:219]// 00000000851C: D3F300D8 0F63054E
	ds_read_b32 v76, v4 offset:44864                           // 000000008524: D86CAF40 4C000004
	ds_read_b32 v77, v4 offset:49216                           // 00000000852C: D86CC040 4D000004
	v_mfma_f32_16x16x32_fp8_fp8 v[220:223], a[76:77], v[144:145], 0// 000000008534: D3F300DC 0A03214C
	v_mfma_f32_16x16x32_fp8_fp8 v[220:223], a[78:79], v[146:147], v[220:223]// 00000000853C: D3F300DC 0F73254E
	ds_read_b32 v78, v4 offset:44896                           // 000000008544: D86CAF60 4E000004
	ds_read_b32 v79, v4 offset:49248                           // 00000000854C: D86CC060 4F000004
	s_waitcnt vmcnt(13)                                        // 000000008554: BF8C0F7D
	v_mfma_f32_16x16x32_fp8_fp8 v[192:195], a[80:81], v[132:133], v[192:195]// 000000008558: D3F300C0 0F030950
	buffer_load_dwordx4 a[16:19], v36, s[12:15], 0 offen       // 000000008560: E05C1000 80831024
	v_mfma_f32_16x16x32_fp8_fp8 v[192:195], a[82:83], v[134:135], v[192:195]// 000000008568: D3F300C0 0F030D52
	v_mfma_f32_16x16x32_fp8_fp8 v[196:199], a[80:81], v[148:149], v[196:199]// 000000008570: D3F300C4 0F132950
	v_mfma_f32_16x16x32_fp8_fp8 v[196:199], a[82:83], v[150:151], v[196:199]// 000000008578: D3F300C4 0F132D52
	v_mfma_f32_16x16x32_fp8_fp8 v[200:203], a[84:85], v[132:133], v[200:203]// 000000008580: D3F300C8 0F230954
	buffer_load_dwordx4 a[20:23], v37, s[12:15], 0 offen       // 000000008588: E05C1000 80831425
	v_mfma_f32_16x16x32_fp8_fp8 v[200:203], a[86:87], v[134:135], v[200:203]// 000000008590: D3F300C8 0F230D56
	v_mfma_f32_16x16x32_fp8_fp8 v[204:207], a[84:85], v[148:149], v[204:207]// 000000008598: D3F300CC 0F332954
	v_mfma_f32_16x16x32_fp8_fp8 v[204:207], a[86:87], v[150:151], v[204:207]// 0000000085A0: D3F300CC 0F332D56
	v_mfma_f32_16x16x32_fp8_fp8 v[208:211], a[88:89], v[132:133], v[208:211]// 0000000085A8: D3F300D0 0F430958
	buffer_load_dwordx4 a[24:27], v38, s[12:15], 0 offen       // 0000000085B0: E05C1000 80831826
	v_mfma_f32_16x16x32_fp8_fp8 v[208:211], a[90:91], v[134:135], v[208:211]// 0000000085B8: D3F300D0 0F430D5A
	v_mfma_f32_16x16x32_fp8_fp8 v[212:215], a[88:89], v[148:149], v[212:215]// 0000000085C0: D3F300D4 0F532958
	v_mfma_f32_16x16x32_fp8_fp8 v[212:215], a[90:91], v[150:151], v[212:215]// 0000000085C8: D3F300D4 0F532D5A
	v_mfma_f32_16x16x32_fp8_fp8 v[216:219], a[92:93], v[132:133], v[216:219]// 0000000085D0: D3F300D8 0F63095C
	buffer_load_dwordx4 a[28:31], v39, s[12:15], 0 offen       // 0000000085D8: E05C1000 80831C27
	s_add_u32 s12, s78, s12                                    // 0000000085E0: 800C0C4E
	s_addc_u32 s13, 0, s13                                     // 0000000085E4: 820D0D80
	v_mfma_f32_16x16x32_fp8_fp8 v[216:219], a[94:95], v[134:135], v[216:219]// 0000000085E8: D3F300D8 0F630D5E
	v_mfma_f32_16x16x32_fp8_fp8 v[220:223], a[92:93], v[148:149], v[220:223]// 0000000085F0: D3F300DC 0F73295C
	v_mfma_f32_16x16x32_fp8_fp8 v[220:223], a[94:95], v[150:151], v[220:223]// 0000000085F8: D3F300DC 0F732D5E
	s_waitcnt vmcnt(13)                                        // 000000008600: BF8C0F7D
	v_mfma_f32_16x16x32_fp8_fp8 v[192:195], a[96:97], v[136:137], v[192:195]// 000000008604: D3F300C0 0F031160
	buffer_load_dwordx4 a[32:35], v36, s[12:15], 0 offen       // 00000000860C: E05C1000 80832024
	v_mfma_f32_16x16x32_fp8_fp8 v[192:195], a[98:99], v[138:139], v[192:195]// 000000008614: D3F300C0 0F031562
	ds_write_b64 v3, v[160:161] offset:18688                   // 00000000861C: D89A4900 0000A003
	v_mfma_f32_16x16x32_fp8_fp8 v[196:199], a[96:97], v[152:153], v[196:199]// 000000008624: D3F300C4 0F133160
	v_mfma_f32_16x16x32_fp8_fp8 v[196:199], a[98:99], v[154:155], v[196:199]// 00000000862C: D3F300C4 0F133562
	ds_write_b64 v3, v[162:163] offset:27392                   // 000000008634: D89A6B00 0000A203
	v_mfma_f32_16x16x32_fp8_fp8 v[200:203], a[100:101], v[136:137], v[200:203]// 00000000863C: D3F300C8 0F231164
	buffer_load_dwordx4 a[36:39], v37, s[12:15], 0 offen       // 000000008644: E05C1000 80832425
	v_mfma_f32_16x16x32_fp8_fp8 v[200:203], a[102:103], v[138:139], v[200:203]// 00000000864C: D3F300C8 0F231566
	ds_write_b64 v3, v[164:165] offset:20864                   // 000000008654: D89A5180 0000A403
	v_mfma_f32_16x16x32_fp8_fp8 v[204:207], a[100:101], v[152:153], v[204:207]// 00000000865C: D3F300CC 0F333164
	v_mfma_f32_16x16x32_fp8_fp8 v[204:207], a[102:103], v[154:155], v[204:207]// 000000008664: D3F300CC 0F333566
	ds_write_b64 v3, v[166:167] offset:29568                   // 00000000866C: D89A7380 0000A603
	v_mfma_f32_16x16x32_fp8_fp8 v[208:211], a[104:105], v[136:137], v[208:211]// 000000008674: D3F300D0 0F431168
	buffer_load_dwordx4 a[40:43], v38, s[12:15], 0 offen       // 00000000867C: E05C1000 80832826
	v_mfma_f32_16x16x32_fp8_fp8 v[208:211], a[106:107], v[138:139], v[208:211]// 000000008684: D3F300D0 0F43156A
	ds_write_b64 v3, v[168:169] offset:23040                   // 00000000868C: D89A5A00 0000A803
	v_mfma_f32_16x16x32_fp8_fp8 v[212:215], a[104:105], v[152:153], v[212:215]// 000000008694: D3F300D4 0F533168
	v_mfma_f32_16x16x32_fp8_fp8 v[212:215], a[106:107], v[154:155], v[212:215]// 00000000869C: D3F300D4 0F53356A
	ds_write_b64 v3, v[170:171] offset:31744                   // 0000000086A4: D89A7C00 0000AA03
	v_mfma_f32_16x16x32_fp8_fp8 v[216:219], a[108:109], v[136:137], v[216:219]// 0000000086AC: D3F300D8 0F63116C
	buffer_load_dwordx4 a[44:47], v39, s[12:15], 0 offen       // 0000000086B4: E05C1000 80832C27
	s_add_u32 s12, s78, s12                                    // 0000000086BC: 800C0C4E
	s_addc_u32 s13, 0, s13                                     // 0000000086C0: 820D0D80
	v_mfma_f32_16x16x32_fp8_fp8 v[216:219], a[110:111], v[138:139], v[216:219]// 0000000086C4: D3F300D8 0F63156E
	ds_write_b64 v3, v[172:173] offset:25216                   // 0000000086CC: D89A6280 0000AC03
	v_mfma_f32_16x16x32_fp8_fp8 v[220:223], a[108:109], v[152:153], v[220:223]// 0000000086D4: D3F300DC 0F73316C
	v_mfma_f32_16x16x32_fp8_fp8 v[220:223], a[110:111], v[154:155], v[220:223]// 0000000086DC: D3F300DC 0F73356E
	ds_write_b64 v3, v[174:175] offset:33920                   // 0000000086E4: D89A8480 0000AE03
	s_waitcnt vmcnt(12)                                        // 0000000086EC: BF8C0F7C
	v_mfma_f32_16x16x32_fp8_fp8 v[192:195], a[112:113], v[140:141], v[192:195]// 0000000086F0: D3F300C0 0F031970
	buffer_load_dwordx4 a[48:51], v36, s[12:15], 0 offen       // 0000000086F8: E05C1000 80833024
	v_mfma_f32_16x16x32_fp8_fp8 v[192:195], a[114:115], v[142:143], v[192:195]// 000000008700: D3F300C0 0F031D72
	v_mfma_f32_16x16x32_fp8_fp8 v[196:199], a[112:113], v[156:157], v[196:199]// 000000008708: D3F300C4 0F133970
	buffer_load_dword v11, v5, s[16:19], 0 offen               // 000000008710: E0501000 80040B05
	v_mfma_f32_16x16x32_fp8_fp8 v[196:199], a[114:115], v[158:159], v[196:199]// 000000008718: D3F300C4 0F133D72
	v_mfma_f32_16x16x32_fp8_fp8 v[200:203], a[116:117], v[140:141], v[200:203]// 000000008720: D3F300C8 0F231974
	buffer_load_dwordx4 a[52:55], v37, s[12:15], 0 offen       // 000000008728: E05C1000 80833425
	v_mfma_f32_16x16x32_fp8_fp8 v[200:203], a[118:119], v[142:143], v[200:203]// 000000008730: D3F300C8 0F231D76
	v_mfma_f32_16x16x32_fp8_fp8 v[204:207], a[116:117], v[156:157], v[204:207]// 000000008738: D3F300CC 0F333974
	v_mfma_f32_16x16x32_fp8_fp8 v[204:207], a[118:119], v[158:159], v[204:207]// 000000008740: D3F300CC 0F333D76
	v_mfma_f32_16x16x32_fp8_fp8 v[208:211], a[120:121], v[140:141], v[208:211]// 000000008748: D3F300D0 0F431978
	buffer_load_dwordx4 a[56:59], v38, s[12:15], 0 offen       // 000000008750: E05C1000 80833826
	v_mfma_f32_16x16x32_fp8_fp8 v[208:211], a[122:123], v[142:143], v[208:211]// 000000008758: D3F300D0 0F431D7A
	v_mfma_f32_16x16x32_fp8_fp8 v[212:215], a[120:121], v[156:157], v[212:215]// 000000008760: D3F300D4 0F533978
	v_mfma_f32_16x16x32_fp8_fp8 v[212:215], a[122:123], v[158:159], v[212:215]// 000000008768: D3F300D4 0F533D7A
	v_mfma_f32_16x16x32_fp8_fp8 v[216:219], a[124:125], v[140:141], v[216:219]// 000000008770: D3F300D8 0F63197C
	buffer_load_dwordx4 a[60:63], v39, s[12:15], 0 offen       // 000000008778: E05C1000 80833C27
	v_mfma_f32_16x16x32_fp8_fp8 v[216:219], a[126:127], v[142:143], v[216:219]// 000000008780: D3F300D8 0F631D7E
	v_mfma_f32_16x16x32_fp8_fp8 v[220:223], a[124:125], v[156:157], v[220:223]// 000000008788: D3F300DC 0F73397C
	v_mfma_f32_16x16x32_fp8_fp8 v[220:223], a[126:127], v[158:159], v[220:223]// 000000008790: D3F300DC 0F733D7E
	s_add_u32 s60, 0x200, s80                                  // 000000008798: 803C50FF 00000200
	s_cmp_lt_u32 s60, s81                                      // 0000000087A0: BF0A513C
	s_cselect_b32 s56, s56, 0                                  // 0000000087A4: 85388038
	s_cselect_b32 s78, s78, 0                                  // 0000000087A8: 854E804E
	s_cselect_b32 s79, s79, 0                                  // 0000000087AC: 854F804F
	s_add_u32 s12, s56, s12                                    // 0000000087B0: 800C0C38
	s_addc_u32 s13, 0, s13                                     // 0000000087B4: 820D0D80
	s_add_u32 s16, s79, s16                                    // 0000000087B8: 8010104F
	s_addc_u32 s17, 0, s17                                     // 0000000087BC: 82111180
	v_mul_f32_e32 v192, v22, v192                              // 0000000087C0: 0B818116
	v_mul_f32_e32 v193, v22, v193                              // 0000000087C4: 0B838316
	v_mul_f32_e32 v194, v22, v194                              // 0000000087C8: 0B858516
	v_mul_f32_e32 v195, v22, v195                              // 0000000087CC: 0B878716
	v_mul_f32_dpp v192, v12, v192 row_newbcast:0 row_mask:0xf bank_mask:0xf// 0000000087D0: 0B8180FA FF01500C
	v_mul_f32_dpp v193, v12, v193 row_newbcast:1 row_mask:0xf bank_mask:0xf// 0000000087D8: 0B8382FA FF01510C
	v_mul_f32_dpp v194, v12, v194 row_newbcast:2 row_mask:0xf bank_mask:0xf// 0000000087E0: 0B8584FA FF01520C
	v_mul_f32_dpp v195, v12, v195 row_newbcast:3 row_mask:0xf bank_mask:0xf// 0000000087E8: 0B8786FA FF01530C
	v_mul_f32_e32 v192, v17, v192                              // 0000000087F0: 0B818111
	v_mul_f32_e32 v193, v17, v193                              // 0000000087F4: 0B838311
	v_mul_f32_e32 v194, v17, v194                              // 0000000087F8: 0B858511
	v_mul_f32_e32 v195, v17, v195                              // 0000000087FC: 0B878711
	v_mul_f32_e32 v196, v23, v196                              // 000000008800: 0B898917
	v_mul_f32_e32 v197, v23, v197                              // 000000008804: 0B8B8B17
	v_mul_f32_e32 v198, v23, v198                              // 000000008808: 0B8D8D17
	v_mul_f32_e32 v199, v23, v199                              // 00000000880C: 0B8F8F17
	v_mul_f32_dpp v196, v12, v196 row_newbcast:0 row_mask:0xf bank_mask:0xf// 000000008810: 0B8988FA FF01500C
	v_mul_f32_dpp v197, v12, v197 row_newbcast:1 row_mask:0xf bank_mask:0xf// 000000008818: 0B8B8AFA FF01510C
	v_mul_f32_dpp v198, v12, v198 row_newbcast:2 row_mask:0xf bank_mask:0xf// 000000008820: 0B8D8CFA FF01520C
	v_mul_f32_dpp v199, v12, v199 row_newbcast:3 row_mask:0xf bank_mask:0xf// 000000008828: 0B8F8EFA FF01530C
	v_mul_f32_e32 v196, v18, v196                              // 000000008830: 0B898912
	v_mul_f32_e32 v197, v18, v197                              // 000000008834: 0B8B8B12
	v_mul_f32_e32 v198, v18, v198                              // 000000008838: 0B8D8D12
	v_mul_f32_e32 v199, v18, v199                              // 00000000883C: 0B8F8F12
	v_mul_f32_e32 v200, v22, v200                              // 000000008840: 0B919116
	v_mul_f32_e32 v201, v22, v201                              // 000000008844: 0B939316
	v_mul_f32_e32 v202, v22, v202                              // 000000008848: 0B959516
	v_mul_f32_e32 v203, v22, v203                              // 00000000884C: 0B979716
	v_mul_f32_dpp v200, v12, v200 row_newbcast:4 row_mask:0xf bank_mask:0xf// 000000008850: 0B9190FA FF01540C
	v_mul_f32_dpp v201, v12, v201 row_newbcast:5 row_mask:0xf bank_mask:0xf// 000000008858: 0B9392FA FF01550C
	v_mul_f32_dpp v202, v12, v202 row_newbcast:6 row_mask:0xf bank_mask:0xf// 000000008860: 0B9594FA FF01560C
	v_mul_f32_dpp v203, v12, v203 row_newbcast:7 row_mask:0xf bank_mask:0xf// 000000008868: 0B9796FA FF01570C
	v_mul_f32_e32 v200, v17, v200                              // 000000008870: 0B919111
	v_mul_f32_e32 v201, v17, v201                              // 000000008874: 0B939311
	v_mul_f32_e32 v202, v17, v202                              // 000000008878: 0B959511
	v_mul_f32_e32 v203, v17, v203                              // 00000000887C: 0B979711
	v_mul_f32_e32 v204, v23, v204                              // 000000008880: 0B999917
	v_mul_f32_e32 v205, v23, v205                              // 000000008884: 0B9B9B17
	v_mul_f32_e32 v206, v23, v206                              // 000000008888: 0B9D9D17
	v_mul_f32_e32 v207, v23, v207                              // 00000000888C: 0B9F9F17
	v_mul_f32_dpp v204, v12, v204 row_newbcast:4 row_mask:0xf bank_mask:0xf// 000000008890: 0B9998FA FF01540C
	v_mul_f32_dpp v205, v12, v205 row_newbcast:5 row_mask:0xf bank_mask:0xf// 000000008898: 0B9B9AFA FF01550C
	v_mul_f32_dpp v206, v12, v206 row_newbcast:6 row_mask:0xf bank_mask:0xf// 0000000088A0: 0B9D9CFA FF01560C
	v_mul_f32_dpp v207, v12, v207 row_newbcast:7 row_mask:0xf bank_mask:0xf// 0000000088A8: 0B9F9EFA FF01570C
	v_mul_f32_e32 v204, v18, v204                              // 0000000088B0: 0B999912
	v_mul_f32_e32 v205, v18, v205                              // 0000000088B4: 0B9B9B12
	v_mul_f32_e32 v206, v18, v206                              // 0000000088B8: 0B9D9D12
	v_mul_f32_e32 v207, v18, v207                              // 0000000088BC: 0B9F9F12
	v_mul_f32_e32 v208, v22, v208                              // 0000000088C0: 0BA1A116
	v_mul_f32_e32 v209, v22, v209                              // 0000000088C4: 0BA3A316
	v_mul_f32_e32 v210, v22, v210                              // 0000000088C8: 0BA5A516
	v_mul_f32_e32 v211, v22, v211                              // 0000000088CC: 0BA7A716
	v_mul_f32_dpp v208, v12, v208 row_newbcast:8 row_mask:0xf bank_mask:0xf// 0000000088D0: 0BA1A0FA FF01580C
	v_mul_f32_dpp v209, v12, v209 row_newbcast:9 row_mask:0xf bank_mask:0xf// 0000000088D8: 0BA3A2FA FF01590C
	v_mul_f32_dpp v210, v12, v210 row_newbcast:10 row_mask:0xf bank_mask:0xf// 0000000088E0: 0BA5A4FA FF015A0C
	v_mul_f32_dpp v211, v12, v211 row_newbcast:11 row_mask:0xf bank_mask:0xf// 0000000088E8: 0BA7A6FA FF015B0C
	v_mul_f32_e32 v208, v17, v208                              // 0000000088F0: 0BA1A111
	v_mul_f32_e32 v209, v17, v209                              // 0000000088F4: 0BA3A311
	v_mul_f32_e32 v210, v17, v210                              // 0000000088F8: 0BA5A511
	v_mul_f32_e32 v211, v17, v211                              // 0000000088FC: 0BA7A711
	v_mul_f32_e32 v212, v23, v212                              // 000000008900: 0BA9A917
	v_mul_f32_e32 v213, v23, v213                              // 000000008904: 0BABAB17
	v_mul_f32_e32 v214, v23, v214                              // 000000008908: 0BADAD17
	v_mul_f32_e32 v215, v23, v215                              // 00000000890C: 0BAFAF17
	v_mul_f32_dpp v212, v12, v212 row_newbcast:8 row_mask:0xf bank_mask:0xf// 000000008910: 0BA9A8FA FF01580C
	v_mul_f32_dpp v213, v12, v213 row_newbcast:9 row_mask:0xf bank_mask:0xf// 000000008918: 0BABAAFA FF01590C
	v_mul_f32_dpp v214, v12, v214 row_newbcast:10 row_mask:0xf bank_mask:0xf// 000000008920: 0BADACFA FF015A0C
	v_mul_f32_dpp v215, v12, v215 row_newbcast:11 row_mask:0xf bank_mask:0xf// 000000008928: 0BAFAEFA FF015B0C
	v_mul_f32_e32 v212, v18, v212                              // 000000008930: 0BA9A912
	v_mul_f32_e32 v213, v18, v213                              // 000000008934: 0BABAB12
	v_mul_f32_e32 v214, v18, v214                              // 000000008938: 0BADAD12
	v_mul_f32_e32 v215, v18, v215                              // 00000000893C: 0BAFAF12
	v_mul_f32_e32 v216, v22, v216                              // 000000008940: 0BB1B116
	v_mul_f32_e32 v217, v22, v217                              // 000000008944: 0BB3B316
	v_mul_f32_e32 v218, v22, v218                              // 000000008948: 0BB5B516
	v_mul_f32_e32 v219, v22, v219                              // 00000000894C: 0BB7B716
	v_mul_f32_dpp v216, v12, v216 row_newbcast:12 row_mask:0xf bank_mask:0xf// 000000008950: 0BB1B0FA FF015C0C
	v_mul_f32_dpp v217, v12, v217 row_newbcast:13 row_mask:0xf bank_mask:0xf// 000000008958: 0BB3B2FA FF015D0C
	v_mul_f32_dpp v218, v12, v218 row_newbcast:14 row_mask:0xf bank_mask:0xf// 000000008960: 0BB5B4FA FF015E0C
	v_mul_f32_dpp v219, v12, v219 row_newbcast:15 row_mask:0xf bank_mask:0xf// 000000008968: 0BB7B6FA FF015F0C
	v_mul_f32_e32 v216, v17, v216                              // 000000008970: 0BB1B111
	v_mul_f32_e32 v217, v17, v217                              // 000000008974: 0BB3B311
	v_mul_f32_e32 v218, v17, v218                              // 000000008978: 0BB5B511
	v_mul_f32_e32 v219, v17, v219                              // 00000000897C: 0BB7B711
	v_mul_f32_e32 v220, v23, v220                              // 000000008980: 0BB9B917
	v_mul_f32_e32 v221, v23, v221                              // 000000008984: 0BBBBB17
	v_mul_f32_e32 v222, v23, v222                              // 000000008988: 0BBDBD17
	v_mul_f32_e32 v223, v23, v223                              // 00000000898C: 0BBFBF17
	v_mul_f32_dpp v220, v12, v220 row_newbcast:12 row_mask:0xf bank_mask:0xf// 000000008990: 0BB9B8FA FF015C0C
	v_mul_f32_dpp v221, v12, v221 row_newbcast:13 row_mask:0xf bank_mask:0xf// 000000008998: 0BBBBAFA FF015D0C
	v_mul_f32_dpp v222, v12, v222 row_newbcast:14 row_mask:0xf bank_mask:0xf// 0000000089A0: 0BBDBCFA FF015E0C
	v_mul_f32_dpp v223, v12, v223 row_newbcast:15 row_mask:0xf bank_mask:0xf// 0000000089A8: 0BBFBEFA FF015F0C
	v_mul_f32_e32 v220, v18, v220                              // 0000000089B0: 0BB9B912
	v_mul_f32_e32 v221, v18, v221                              // 0000000089B4: 0BBBBB12
	v_mul_f32_e32 v222, v18, v222                              // 0000000089B8: 0BBDBD12
	v_mul_f32_e32 v223, v18, v223                              // 0000000089BC: 0BBFBF12
	v_cvt_pkrtz_f16_f32 v192, v192, v193                       // 0000000089C0: D29600C0 000383C0
	v_cvt_pkrtz_f16_f32 v193, v194, v195                       // 0000000089C8: D29600C1 000387C2
	v_cvt_pkrtz_f16_f32 v194, v196, v197                       // 0000000089D0: D29600C2 00038BC4
	v_cvt_pkrtz_f16_f32 v195, v198, v199                       // 0000000089D8: D29600C3 00038FC6
	v_cvt_pkrtz_f16_f32 v196, v200, v201                       // 0000000089E0: D29600C4 000393C8
	v_cvt_pkrtz_f16_f32 v197, v202, v203                       // 0000000089E8: D29600C5 000397CA
	v_cvt_pkrtz_f16_f32 v198, v204, v205                       // 0000000089F0: D29600C6 00039BCC
	v_cvt_pkrtz_f16_f32 v199, v206, v207                       // 0000000089F8: D29600C7 00039FCE
	v_cvt_pkrtz_f16_f32 v200, v208, v209                       // 000000008A00: D29600C8 0003A3D0
	v_cvt_pkrtz_f16_f32 v201, v210, v211                       // 000000008A08: D29600C9 0003A7D2
	v_cvt_pkrtz_f16_f32 v202, v212, v213                       // 000000008A10: D29600CA 0003ABD4
	v_cvt_pkrtz_f16_f32 v203, v214, v215                       // 000000008A18: D29600CB 0003AFD6
	v_cvt_pkrtz_f16_f32 v204, v216, v217                       // 000000008A20: D29600CC 0003B3D8
	v_cvt_pkrtz_f16_f32 v205, v218, v219                       // 000000008A28: D29600CD 0003B7DA
	v_cvt_pkrtz_f16_f32 v206, v220, v221                       // 000000008A30: D29600CE 0003BBDC
	v_cvt_pkrtz_f16_f32 v207, v222, v223                       // 000000008A38: D29600CF 0003BFDE
	s_cmp_ge_u32 s80, 0x200                                    // 000000008A40: BF09FF50 00000200
	s_cselect_b32 s59, 0x200, s59                              // 000000008A48: 853B3BFF 00000200
	s_setvskip s20, 0                                          // 000000008A50: BF108014
	global_atomic_pk_add_f16 v80, v64, s[8:9]                  // 000000008A54: DD388000 00084050
	s_setvskip 0, 0                                            // 000000008A5C: BF108080
	s_setvskip s20, 0                                          // 000000008A60: BF108014
	global_atomic_pk_add_f16 v80, v65, s[8:9] offset:256       // 000000008A64: DD388100 00084150
	s_setvskip 0, 0                                            // 000000008A6C: BF108080
	s_setvskip s20, 1                                          // 000000008A70: BF108114
	global_atomic_pk_add_f16 v82, v66, s[8:9]                  // 000000008A74: DD388000 00084252
	s_setvskip 0, 0                                            // 000000008A7C: BF108080
	s_setvskip s20, 1                                          // 000000008A80: BF108114
	global_atomic_pk_add_f16 v82, v67, s[8:9] offset:256       // 000000008A84: DD388100 00084352
	s_setvskip 0, 0                                            // 000000008A8C: BF108080
	s_setvskip s20, 2                                          // 000000008A90: BF108214
	global_atomic_pk_add_f16 v84, v68, s[8:9]                  // 000000008A94: DD388000 00084454
	s_setvskip 0, 0                                            // 000000008A9C: BF108080
	s_setvskip s20, 2                                          // 000000008AA0: BF108214
	global_atomic_pk_add_f16 v84, v69, s[8:9] offset:256       // 000000008AA4: DD388100 00084554
	s_setvskip 0, 0                                            // 000000008AAC: BF108080
	s_setvskip s20, 3                                          // 000000008AB0: BF108314
	global_atomic_pk_add_f16 v86, v70, s[8:9]                  // 000000008AB4: DD388000 00084656
	s_setvskip 0, 0                                            // 000000008ABC: BF108080
	s_setvskip s20, 3                                          // 000000008AC0: BF108314
	global_atomic_pk_add_f16 v86, v71, s[8:9] offset:256       // 000000008AC4: DD388100 00084756
	s_setvskip 0, 0                                            // 000000008ACC: BF108080
	s_setvskip s20, 4                                          // 000000008AD0: BF108414
	global_atomic_pk_add_f16 v88, v72, s[8:9]                  // 000000008AD4: DD388000 00084858
	s_setvskip 0, 0                                            // 000000008ADC: BF108080
	s_setvskip s20, 4                                          // 000000008AE0: BF108414
	global_atomic_pk_add_f16 v88, v73, s[8:9] offset:256       // 000000008AE4: DD388100 00084958
	s_setvskip 0, 0                                            // 000000008AEC: BF108080
	s_setvskip s20, 5                                          // 000000008AF0: BF108514
	global_atomic_pk_add_f16 v90, v74, s[8:9]                  // 000000008AF4: DD388000 00084A5A
	s_setvskip 0, 0                                            // 000000008AFC: BF108080
	s_setvskip s20, 5                                          // 000000008B00: BF108514
	global_atomic_pk_add_f16 v90, v75, s[8:9] offset:256       // 000000008B04: DD388100 00084B5A
	s_setvskip 0, 0                                            // 000000008B0C: BF108080
	s_setvskip s20, 6                                          // 000000008B10: BF108614
	global_atomic_pk_add_f16 v92, v76, s[8:9]                  // 000000008B14: DD388000 00084C5C
	s_setvskip 0, 0                                            // 000000008B1C: BF108080
	s_setvskip s20, 6                                          // 000000008B20: BF108614
	global_atomic_pk_add_f16 v92, v77, s[8:9] offset:256       // 000000008B24: DD388100 00084D5C
	s_setvskip 0, 0                                            // 000000008B2C: BF108080
	s_setvskip s20, 7                                          // 000000008B30: BF108714
	global_atomic_pk_add_f16 v94, v78, s[8:9]                  // 000000008B34: DD388000 00084E5E
	s_setvskip 0, 0                                            // 000000008B3C: BF108080
	s_setvskip s20, 7                                          // 000000008B40: BF108714
	global_atomic_pk_add_f16 v94, v79, s[8:9] offset:256       // 000000008B44: DD388100 00084F5E
	s_setvskip 0, 0                                            // 000000008B4C: BF108080
	s_add_u32 s8, s59, s8                                      // 000000008B50: 8008083B
	s_addc_u32 s9, 0, s9                                       // 000000008B54: 82090980
	s_addk_i32 s80, 0x100                                      // 000000008B58: B7500100
	s_cmp_lt_i32 s80, s81                                      // 000000008B5C: BF045150
	s_cbranch_scc0 label_0CCB                                  // 000000008B60: BF84F572
	s_branch label_13B9                                        // 000000008B64: BF82FC5F

0000000000008b68 <label_175A>:
	s_cmp_ge_u32 s59, 0                                        // 000000008B68: BF09803B
	s_cselect_b32 s59, 0x200, s59                              // 000000008B6C: 853B3BFF 00000200
	s_waitcnt lgkmcnt(0)                                       // 000000008B74: BF8CC07F
	s_barrier                                                  // 000000008B78: BF8A0000
	s_cmp_eq_u32 s64, 0x100                                    // 000000008B7C: BF06FF40 00000100
	s_cbranch_scc0 label_17D6                                  // 000000008B84: BF840074
	ds_write_b64 v3, v[160:161] offset:18688                   // 000000008B88: D89A4900 0000A003
	ds_write_b64 v3, v[162:163] offset:27392                   // 000000008B90: D89A6B00 0000A203
	ds_write_b64 v3, v[164:165] offset:20864                   // 000000008B98: D89A5180 0000A403
	ds_write_b64 v3, v[166:167] offset:29568                   // 000000008BA0: D89A7380 0000A603
	ds_write_b64 v3, v[168:169] offset:23040                   // 000000008BA8: D89A5A00 0000A803
	ds_write_b64 v3, v[170:171] offset:31744                   // 000000008BB0: D89A7C00 0000AA03
	ds_write_b64 v3, v[172:173] offset:25216                   // 000000008BB8: D89A6280 0000AC03
	ds_write_b64 v3, v[174:175] offset:33920                   // 000000008BC0: D89A8480 0000AE03
	s_waitcnt lgkmcnt(0)                                       // 000000008BC8: BF8CC07F
	s_barrier                                                  // 000000008BCC: BF8A0000
	ds_read_b32 v64, v4 offset:18688                           // 000000008BD0: D86C4900 40000004
	ds_read_b32 v65, v4 offset:23040                           // 000000008BD8: D86C5A00 41000004
	ds_read_b32 v66, v4 offset:18720                           // 000000008BE0: D86C4920 42000004
	ds_read_b32 v67, v4 offset:23072                           // 000000008BE8: D86C5A20 43000004
	ds_read_b32 v68, v4 offset:18752                           // 000000008BF0: D86C4940 44000004
	ds_read_b32 v69, v4 offset:23104                           // 000000008BF8: D86C5A40 45000004
	ds_read_b32 v70, v4 offset:18784                           // 000000008C00: D86C4960 46000004
	ds_read_b32 v71, v4 offset:23136                           // 000000008C08: D86C5A60 47000004
	ds_read_b32 v72, v4 offset:27392                           // 000000008C10: D86C6B00 48000004
	ds_read_b32 v73, v4 offset:31744                           // 000000008C18: D86C7C00 49000004
	ds_read_b32 v74, v4 offset:27424                           // 000000008C20: D86C6B20 4A000004
	ds_read_b32 v75, v4 offset:31776                           // 000000008C28: D86C7C20 4B000004
	ds_read_b32 v76, v4 offset:27456                           // 000000008C30: D86C6B40 4C000004
	ds_read_b32 v77, v4 offset:31808                           // 000000008C38: D86C7C40 4D000004
	ds_read_b32 v78, v4 offset:27488                           // 000000008C40: D86C6B60 4E000004
	ds_read_b32 v79, v4 offset:31840                           // 000000008C48: D86C7C60 4F000004
	s_waitcnt lgkmcnt(0)                                       // 000000008C50: BF8CC07F
	s_setvskip s20, 0                                          // 000000008C54: BF108014
	global_atomic_pk_add_f16 v80, v64, s[8:9]                  // 000000008C58: DD388000 00084050
	s_setvskip 0, 0                                            // 000000008C60: BF108080
	s_setvskip s20, 0                                          // 000000008C64: BF108014
	global_atomic_pk_add_f16 v80, v65, s[8:9] offset:256       // 000000008C68: DD388100 00084150
	s_setvskip 0, 0                                            // 000000008C70: BF108080
	s_setvskip s20, 1                                          // 000000008C74: BF108114
	global_atomic_pk_add_f16 v82, v66, s[8:9]                  // 000000008C78: DD388000 00084252
	s_setvskip 0, 0                                            // 000000008C80: BF108080
	s_setvskip s20, 1                                          // 000000008C84: BF108114
	global_atomic_pk_add_f16 v82, v67, s[8:9] offset:256       // 000000008C88: DD388100 00084352
	s_setvskip 0, 0                                            // 000000008C90: BF108080
	s_setvskip s20, 2                                          // 000000008C94: BF108214
	global_atomic_pk_add_f16 v84, v68, s[8:9]                  // 000000008C98: DD388000 00084454
	s_setvskip 0, 0                                            // 000000008CA0: BF108080
	s_setvskip s20, 2                                          // 000000008CA4: BF108214
	global_atomic_pk_add_f16 v84, v69, s[8:9] offset:256       // 000000008CA8: DD388100 00084554
	s_setvskip 0, 0                                            // 000000008CB0: BF108080
	s_setvskip s20, 3                                          // 000000008CB4: BF108314
	global_atomic_pk_add_f16 v86, v70, s[8:9]                  // 000000008CB8: DD388000 00084656
	s_setvskip 0, 0                                            // 000000008CC0: BF108080
	s_setvskip s20, 3                                          // 000000008CC4: BF108314
	global_atomic_pk_add_f16 v86, v71, s[8:9] offset:256       // 000000008CC8: DD388100 00084756
	s_setvskip 0, 0                                            // 000000008CD0: BF108080
	s_setvskip s20, 4                                          // 000000008CD4: BF108414
	global_atomic_pk_add_f16 v88, v72, s[8:9]                  // 000000008CD8: DD388000 00084858
	s_setvskip 0, 0                                            // 000000008CE0: BF108080
	s_setvskip s20, 4                                          // 000000008CE4: BF108414
	global_atomic_pk_add_f16 v88, v73, s[8:9] offset:256       // 000000008CE8: DD388100 00084958
	s_setvskip 0, 0                                            // 000000008CF0: BF108080
	s_setvskip s20, 5                                          // 000000008CF4: BF108514
	global_atomic_pk_add_f16 v90, v74, s[8:9]                  // 000000008CF8: DD388000 00084A5A
	s_setvskip 0, 0                                            // 000000008D00: BF108080
	s_setvskip s20, 5                                          // 000000008D04: BF108514
	global_atomic_pk_add_f16 v90, v75, s[8:9] offset:256       // 000000008D08: DD388100 00084B5A
	s_setvskip 0, 0                                            // 000000008D10: BF108080
	s_setvskip s20, 6                                          // 000000008D14: BF108614
	global_atomic_pk_add_f16 v92, v76, s[8:9]                  // 000000008D18: DD388000 00084C5C
	s_setvskip 0, 0                                            // 000000008D20: BF108080
	s_setvskip s20, 6                                          // 000000008D24: BF108614
	global_atomic_pk_add_f16 v92, v77, s[8:9] offset:256       // 000000008D28: DD388100 00084D5C
	s_setvskip 0, 0                                            // 000000008D30: BF108080
	s_setvskip s20, 7                                          // 000000008D34: BF108714
	global_atomic_pk_add_f16 v94, v78, s[8:9]                  // 000000008D38: DD388000 00084E5E
	s_setvskip 0, 0                                            // 000000008D40: BF108080
	s_setvskip s20, 7                                          // 000000008D44: BF108714
	global_atomic_pk_add_f16 v94, v79, s[8:9] offset:256       // 000000008D48: DD388100 00084F5E
	s_setvskip 0, 0                                            // 000000008D50: BF108080
	s_branch label_18AC                                        // 000000008D54: BF8200D6

0000000000008d58 <label_17D6>:
	ds_read_b32 v64, v4 offset:18688                           // 000000008D58: D86C4900 40000004
	ds_read_b32 v65, v4 offset:23040                           // 000000008D60: D86C5A00 41000004
	ds_read_b32 v66, v4 offset:18720                           // 000000008D68: D86C4920 42000004
	ds_read_b32 v67, v4 offset:23072                           // 000000008D70: D86C5A20 43000004
	ds_read_b32 v68, v4 offset:18752                           // 000000008D78: D86C4940 44000004
	ds_read_b32 v69, v4 offset:23104                           // 000000008D80: D86C5A40 45000004
	ds_read_b32 v70, v4 offset:18784                           // 000000008D88: D86C4960 46000004
	ds_read_b32 v71, v4 offset:23136                           // 000000008D90: D86C5A60 47000004
	ds_read_b32 v72, v4 offset:27392                           // 000000008D98: D86C6B00 48000004
	ds_read_b32 v73, v4 offset:31744                           // 000000008DA0: D86C7C00 49000004
	ds_read_b32 v74, v4 offset:27424                           // 000000008DA8: D86C6B20 4A000004
	ds_read_b32 v75, v4 offset:31776                           // 000000008DB0: D86C7C20 4B000004
	ds_read_b32 v76, v4 offset:27456                           // 000000008DB8: D86C6B40 4C000004
	ds_read_b32 v77, v4 offset:31808                           // 000000008DC0: D86C7C40 4D000004
	ds_read_b32 v78, v4 offset:27488                           // 000000008DC8: D86C6B60 4E000004
	ds_read_b32 v79, v4 offset:31840                           // 000000008DD0: D86C7C60 4F000004
	s_waitcnt lgkmcnt(0)                                       // 000000008DD8: BF8CC07F
	s_setvskip s20, 0                                          // 000000008DDC: BF108014
	global_atomic_pk_add_f16 v80, v64, s[8:9]                  // 000000008DE0: DD388000 00084050
	s_setvskip 0, 0                                            // 000000008DE8: BF108080
	s_setvskip s20, 0                                          // 000000008DEC: BF108014
	global_atomic_pk_add_f16 v80, v65, s[8:9] offset:256       // 000000008DF0: DD388100 00084150
	s_setvskip 0, 0                                            // 000000008DF8: BF108080
	s_setvskip s20, 1                                          // 000000008DFC: BF108114
	global_atomic_pk_add_f16 v82, v66, s[8:9]                  // 000000008E00: DD388000 00084252
	s_setvskip 0, 0                                            // 000000008E08: BF108080
	s_setvskip s20, 1                                          // 000000008E0C: BF108114
	global_atomic_pk_add_f16 v82, v67, s[8:9] offset:256       // 000000008E10: DD388100 00084352
	s_setvskip 0, 0                                            // 000000008E18: BF108080
	s_setvskip s20, 2                                          // 000000008E1C: BF108214
	global_atomic_pk_add_f16 v84, v68, s[8:9]                  // 000000008E20: DD388000 00084454
	s_setvskip 0, 0                                            // 000000008E28: BF108080
	s_setvskip s20, 2                                          // 000000008E2C: BF108214
	global_atomic_pk_add_f16 v84, v69, s[8:9] offset:256       // 000000008E30: DD388100 00084554
	s_setvskip 0, 0                                            // 000000008E38: BF108080
	s_setvskip s20, 3                                          // 000000008E3C: BF108314
	global_atomic_pk_add_f16 v86, v70, s[8:9]                  // 000000008E40: DD388000 00084656
	s_setvskip 0, 0                                            // 000000008E48: BF108080
	s_setvskip s20, 3                                          // 000000008E4C: BF108314
	global_atomic_pk_add_f16 v86, v71, s[8:9] offset:256       // 000000008E50: DD388100 00084756
	s_setvskip 0, 0                                            // 000000008E58: BF108080
	s_setvskip s20, 4                                          // 000000008E5C: BF108414
	global_atomic_pk_add_f16 v88, v72, s[8:9]                  // 000000008E60: DD388000 00084858
	s_setvskip 0, 0                                            // 000000008E68: BF108080
	s_setvskip s20, 4                                          // 000000008E6C: BF108414
	global_atomic_pk_add_f16 v88, v73, s[8:9] offset:256       // 000000008E70: DD388100 00084958
	s_setvskip 0, 0                                            // 000000008E78: BF108080
	s_setvskip s20, 5                                          // 000000008E7C: BF108514
	global_atomic_pk_add_f16 v90, v74, s[8:9]                  // 000000008E80: DD388000 00084A5A
	s_setvskip 0, 0                                            // 000000008E88: BF108080
	s_setvskip s20, 5                                          // 000000008E8C: BF108514
	global_atomic_pk_add_f16 v90, v75, s[8:9] offset:256       // 000000008E90: DD388100 00084B5A
	s_setvskip 0, 0                                            // 000000008E98: BF108080
	s_setvskip s20, 6                                          // 000000008E9C: BF108614
	global_atomic_pk_add_f16 v92, v76, s[8:9]                  // 000000008EA0: DD388000 00084C5C
	s_setvskip 0, 0                                            // 000000008EA8: BF108080
	s_setvskip s20, 6                                          // 000000008EAC: BF108614
	global_atomic_pk_add_f16 v92, v77, s[8:9] offset:256       // 000000008EB0: DD388100 00084D5C
	s_setvskip 0, 0                                            // 000000008EB8: BF108080
	s_setvskip s20, 7                                          // 000000008EBC: BF108714
	global_atomic_pk_add_f16 v94, v78, s[8:9]                  // 000000008EC0: DD388000 00084E5E
	s_setvskip 0, 0                                            // 000000008EC8: BF108080
	s_setvskip s20, 7                                          // 000000008ECC: BF108714
	global_atomic_pk_add_f16 v94, v79, s[8:9] offset:256       // 000000008ED0: DD388100 00084F5E
	s_setvskip 0, 0                                            // 000000008ED8: BF108080
	s_add_u32 s8, s59, s8                                      // 000000008EDC: 8008083B
	s_addc_u32 s9, 0, s9                                       // 000000008EE0: 82090980
	ds_write_b64 v3, v[192:193] offset:36096                   // 000000008EE4: D89A8D00 0000C003
	ds_write_b64 v3, v[194:195] offset:44800                   // 000000008EEC: D89AAF00 0000C203
	ds_write_b64 v3, v[196:197] offset:38272                   // 000000008EF4: D89A9580 0000C403
	ds_write_b64 v3, v[198:199] offset:46976                   // 000000008EFC: D89AB780 0000C603
	ds_write_b64 v3, v[200:201] offset:40448                   // 000000008F04: D89A9E00 0000C803
	ds_write_b64 v3, v[202:203] offset:49152                   // 000000008F0C: D89AC000 0000CA03
	ds_write_b64 v3, v[204:205] offset:42624                   // 000000008F14: D89AA680 0000CC03
	ds_write_b64 v3, v[206:207] offset:51328                   // 000000008F1C: D89AC880 0000CE03
	s_waitcnt lgkmcnt(0)                                       // 000000008F24: BF8CC07F
	s_barrier                                                  // 000000008F28: BF8A0000
	ds_read_b32 v64, v4 offset:36096                           // 000000008F2C: D86C8D00 40000004
	ds_read_b32 v65, v4 offset:40448                           // 000000008F34: D86C9E00 41000004
	ds_read_b32 v66, v4 offset:36128                           // 000000008F3C: D86C8D20 42000004
	ds_read_b32 v67, v4 offset:40480                           // 000000008F44: D86C9E20 43000004
	ds_read_b32 v68, v4 offset:36160                           // 000000008F4C: D86C8D40 44000004
	ds_read_b32 v69, v4 offset:40512                           // 000000008F54: D86C9E40 45000004
	ds_read_b32 v70, v4 offset:36192                           // 000000008F5C: D86C8D60 46000004
	ds_read_b32 v71, v4 offset:40544                           // 000000008F64: D86C9E60 47000004
	ds_read_b32 v72, v4 offset:44800                           // 000000008F6C: D86CAF00 48000004
	ds_read_b32 v73, v4 offset:49152                           // 000000008F74: D86CC000 49000004
	ds_read_b32 v74, v4 offset:44832                           // 000000008F7C: D86CAF20 4A000004
	ds_read_b32 v75, v4 offset:49184                           // 000000008F84: D86CC020 4B000004
	ds_read_b32 v76, v4 offset:44864                           // 000000008F8C: D86CAF40 4C000004
	ds_read_b32 v77, v4 offset:49216                           // 000000008F94: D86CC040 4D000004
	ds_read_b32 v78, v4 offset:44896                           // 000000008F9C: D86CAF60 4E000004
	ds_read_b32 v79, v4 offset:49248                           // 000000008FA4: D86CC060 4F000004
	s_waitcnt lgkmcnt(0)                                       // 000000008FAC: BF8CC07F
	s_setvskip s20, 0                                          // 000000008FB0: BF108014
	global_atomic_pk_add_f16 v80, v64, s[8:9]                  // 000000008FB4: DD388000 00084050
	s_setvskip 0, 0                                            // 000000008FBC: BF108080
	s_setvskip s20, 0                                          // 000000008FC0: BF108014
	global_atomic_pk_add_f16 v80, v65, s[8:9] offset:256       // 000000008FC4: DD388100 00084150
	s_setvskip 0, 0                                            // 000000008FCC: BF108080
	s_setvskip s20, 1                                          // 000000008FD0: BF108114
	global_atomic_pk_add_f16 v82, v66, s[8:9]                  // 000000008FD4: DD388000 00084252
	s_setvskip 0, 0                                            // 000000008FDC: BF108080
	s_setvskip s20, 1                                          // 000000008FE0: BF108114
	global_atomic_pk_add_f16 v82, v67, s[8:9] offset:256       // 000000008FE4: DD388100 00084352
	s_setvskip 0, 0                                            // 000000008FEC: BF108080
	s_setvskip s20, 2                                          // 000000008FF0: BF108214
	global_atomic_pk_add_f16 v84, v68, s[8:9]                  // 000000008FF4: DD388000 00084454
	s_setvskip 0, 0                                            // 000000008FFC: BF108080
	s_setvskip s20, 2                                          // 000000009000: BF108214
	global_atomic_pk_add_f16 v84, v69, s[8:9] offset:256       // 000000009004: DD388100 00084554
	s_setvskip 0, 0                                            // 00000000900C: BF108080
	s_setvskip s20, 3                                          // 000000009010: BF108314
	global_atomic_pk_add_f16 v86, v70, s[8:9]                  // 000000009014: DD388000 00084656
	s_setvskip 0, 0                                            // 00000000901C: BF108080
	s_setvskip s20, 3                                          // 000000009020: BF108314
	global_atomic_pk_add_f16 v86, v71, s[8:9] offset:256       // 000000009024: DD388100 00084756
	s_setvskip 0, 0                                            // 00000000902C: BF108080
	s_setvskip s20, 4                                          // 000000009030: BF108414
	global_atomic_pk_add_f16 v88, v72, s[8:9]                  // 000000009034: DD388000 00084858
	s_setvskip 0, 0                                            // 00000000903C: BF108080
	s_setvskip s20, 4                                          // 000000009040: BF108414
	global_atomic_pk_add_f16 v88, v73, s[8:9] offset:256       // 000000009044: DD388100 00084958
	s_setvskip 0, 0                                            // 00000000904C: BF108080
	s_setvskip s20, 5                                          // 000000009050: BF108514
	global_atomic_pk_add_f16 v90, v74, s[8:9]                  // 000000009054: DD388000 00084A5A
	s_setvskip 0, 0                                            // 00000000905C: BF108080
	s_setvskip s20, 5                                          // 000000009060: BF108514
	global_atomic_pk_add_f16 v90, v75, s[8:9] offset:256       // 000000009064: DD388100 00084B5A
	s_setvskip 0, 0                                            // 00000000906C: BF108080
	s_setvskip s20, 6                                          // 000000009070: BF108614
	global_atomic_pk_add_f16 v92, v76, s[8:9]                  // 000000009074: DD388000 00084C5C
	s_setvskip 0, 0                                            // 00000000907C: BF108080
	s_setvskip s20, 6                                          // 000000009080: BF108614
	global_atomic_pk_add_f16 v92, v77, s[8:9] offset:256       // 000000009084: DD388100 00084D5C
	s_setvskip 0, 0                                            // 00000000908C: BF108080
	s_setvskip s20, 7                                          // 000000009090: BF108714
	global_atomic_pk_add_f16 v94, v78, s[8:9]                  // 000000009094: DD388000 00084E5E
	s_setvskip 0, 0                                            // 00000000909C: BF108080
	s_setvskip s20, 7                                          // 0000000090A0: BF108714
	global_atomic_pk_add_f16 v94, v79, s[8:9] offset:256       // 0000000090A4: DD388100 00084F5E
	s_setvskip 0, 0                                            // 0000000090AC: BF108080

00000000000090b0 <label_18AC>:
	s_waitcnt vmcnt(0) expcnt(0) lgkmcnt(0)                    // 0000000090B0: BF8C0000
	s_endpgm                                                   // 0000000090B4: BF810000
